;; amdgpu-corpus repo=ROCm/rocFFT kind=compiled arch=gfx1201 opt=O3
	.text
	.amdgcn_target "amdgcn-amd-amdhsa--gfx1201"
	.amdhsa_code_object_version 6
	.protected	fft_rtc_fwd_len1176_factors_2_2_2_3_7_7_wgs_56_tpt_56_halfLds_half_op_CI_CI_unitstride_sbrr_R2C_dirReg ; -- Begin function fft_rtc_fwd_len1176_factors_2_2_2_3_7_7_wgs_56_tpt_56_halfLds_half_op_CI_CI_unitstride_sbrr_R2C_dirReg
	.globl	fft_rtc_fwd_len1176_factors_2_2_2_3_7_7_wgs_56_tpt_56_halfLds_half_op_CI_CI_unitstride_sbrr_R2C_dirReg
	.p2align	8
	.type	fft_rtc_fwd_len1176_factors_2_2_2_3_7_7_wgs_56_tpt_56_halfLds_half_op_CI_CI_unitstride_sbrr_R2C_dirReg,@function
fft_rtc_fwd_len1176_factors_2_2_2_3_7_7_wgs_56_tpt_56_halfLds_half_op_CI_CI_unitstride_sbrr_R2C_dirReg: ; @fft_rtc_fwd_len1176_factors_2_2_2_3_7_7_wgs_56_tpt_56_halfLds_half_op_CI_CI_unitstride_sbrr_R2C_dirReg
; %bb.0:
	s_clause 0x2
	s_load_b128 s[8:11], s[0:1], 0x0
	s_load_b128 s[4:7], s[0:1], 0x58
	;; [unrolled: 1-line block ×3, first 2 shown]
	v_mul_u32_u24_e32 v1, 0x493, v0
	v_mov_b32_e32 v3, 0
	s_delay_alu instid0(VALU_DEP_2) | instskip(NEXT) | instid1(VALU_DEP_1)
	v_lshrrev_b32_e32 v1, 16, v1
	v_add_nc_u32_e32 v5, ttmp9, v1
	v_mov_b32_e32 v1, 0
	v_mov_b32_e32 v2, 0
	;; [unrolled: 1-line block ×3, first 2 shown]
	s_wait_kmcnt 0x0
	v_cmp_lt_u64_e64 s2, s[10:11], 2
	s_delay_alu instid0(VALU_DEP_1)
	s_and_b32 vcc_lo, exec_lo, s2
	s_cbranch_vccnz .LBB0_8
; %bb.1:
	s_load_b64 s[2:3], s[0:1], 0x10
	v_mov_b32_e32 v1, 0
	v_mov_b32_e32 v2, 0
	s_add_nc_u64 s[16:17], s[14:15], 8
	s_add_nc_u64 s[18:19], s[12:13], 8
	s_mov_b64 s[20:21], 1
	s_delay_alu instid0(VALU_DEP_1)
	v_dual_mov_b32 v13, v2 :: v_dual_mov_b32 v12, v1
	s_wait_kmcnt 0x0
	s_add_nc_u64 s[22:23], s[2:3], 8
	s_mov_b32 s3, 0
.LBB0_2:                                ; =>This Inner Loop Header: Depth=1
	s_load_b64 s[24:25], s[22:23], 0x0
                                        ; implicit-def: $vgpr16_vgpr17
	s_mov_b32 s2, exec_lo
	s_wait_kmcnt 0x0
	v_or_b32_e32 v4, s25, v6
	s_delay_alu instid0(VALU_DEP_1)
	v_cmpx_ne_u64_e32 0, v[3:4]
	s_wait_alu 0xfffe
	s_xor_b32 s26, exec_lo, s2
	s_cbranch_execz .LBB0_4
; %bb.3:                                ;   in Loop: Header=BB0_2 Depth=1
	s_cvt_f32_u32 s2, s24
	s_cvt_f32_u32 s27, s25
	s_sub_nc_u64 s[30:31], 0, s[24:25]
	s_wait_alu 0xfffe
	s_delay_alu instid0(SALU_CYCLE_1) | instskip(SKIP_1) | instid1(SALU_CYCLE_2)
	s_fmamk_f32 s2, s27, 0x4f800000, s2
	s_wait_alu 0xfffe
	v_s_rcp_f32 s2, s2
	s_delay_alu instid0(TRANS32_DEP_1) | instskip(SKIP_1) | instid1(SALU_CYCLE_2)
	s_mul_f32 s2, s2, 0x5f7ffffc
	s_wait_alu 0xfffe
	s_mul_f32 s27, s2, 0x2f800000
	s_wait_alu 0xfffe
	s_delay_alu instid0(SALU_CYCLE_2) | instskip(SKIP_1) | instid1(SALU_CYCLE_2)
	s_trunc_f32 s27, s27
	s_wait_alu 0xfffe
	s_fmamk_f32 s2, s27, 0xcf800000, s2
	s_cvt_u32_f32 s29, s27
	s_wait_alu 0xfffe
	s_delay_alu instid0(SALU_CYCLE_1) | instskip(SKIP_1) | instid1(SALU_CYCLE_2)
	s_cvt_u32_f32 s28, s2
	s_wait_alu 0xfffe
	s_mul_u64 s[34:35], s[30:31], s[28:29]
	s_wait_alu 0xfffe
	s_mul_hi_u32 s37, s28, s35
	s_mul_i32 s36, s28, s35
	s_mul_hi_u32 s2, s28, s34
	s_mul_i32 s33, s29, s34
	s_wait_alu 0xfffe
	s_add_nc_u64 s[36:37], s[2:3], s[36:37]
	s_mul_hi_u32 s27, s29, s34
	s_mul_hi_u32 s38, s29, s35
	s_add_co_u32 s2, s36, s33
	s_wait_alu 0xfffe
	s_add_co_ci_u32 s2, s37, s27
	s_mul_i32 s34, s29, s35
	s_add_co_ci_u32 s35, s38, 0
	s_wait_alu 0xfffe
	s_add_nc_u64 s[34:35], s[2:3], s[34:35]
	s_wait_alu 0xfffe
	v_add_co_u32 v4, s2, s28, s34
	s_delay_alu instid0(VALU_DEP_1) | instskip(SKIP_1) | instid1(VALU_DEP_1)
	s_cmp_lg_u32 s2, 0
	s_add_co_ci_u32 s29, s29, s35
	v_readfirstlane_b32 s28, v4
	s_wait_alu 0xfffe
	s_delay_alu instid0(VALU_DEP_1)
	s_mul_u64 s[30:31], s[30:31], s[28:29]
	s_wait_alu 0xfffe
	s_mul_hi_u32 s35, s28, s31
	s_mul_i32 s34, s28, s31
	s_mul_hi_u32 s2, s28, s30
	s_mul_i32 s33, s29, s30
	s_wait_alu 0xfffe
	s_add_nc_u64 s[34:35], s[2:3], s[34:35]
	s_mul_hi_u32 s27, s29, s30
	s_mul_hi_u32 s28, s29, s31
	s_wait_alu 0xfffe
	s_add_co_u32 s2, s34, s33
	s_add_co_ci_u32 s2, s35, s27
	s_mul_i32 s30, s29, s31
	s_add_co_ci_u32 s31, s28, 0
	s_wait_alu 0xfffe
	s_add_nc_u64 s[30:31], s[2:3], s[30:31]
	s_wait_alu 0xfffe
	v_add_co_u32 v4, s2, v4, s30
	s_delay_alu instid0(VALU_DEP_1) | instskip(SKIP_1) | instid1(VALU_DEP_1)
	s_cmp_lg_u32 s2, 0
	s_add_co_ci_u32 s2, s29, s31
	v_mul_hi_u32 v11, v5, v4
	s_wait_alu 0xfffe
	v_mad_co_u64_u32 v[7:8], null, v5, s2, 0
	v_mad_co_u64_u32 v[9:10], null, v6, v4, 0
	;; [unrolled: 1-line block ×3, first 2 shown]
	s_delay_alu instid0(VALU_DEP_3) | instskip(SKIP_1) | instid1(VALU_DEP_4)
	v_add_co_u32 v4, vcc_lo, v11, v7
	s_wait_alu 0xfffd
	v_add_co_ci_u32_e32 v7, vcc_lo, 0, v8, vcc_lo
	s_delay_alu instid0(VALU_DEP_2) | instskip(SKIP_1) | instid1(VALU_DEP_2)
	v_add_co_u32 v4, vcc_lo, v4, v9
	s_wait_alu 0xfffd
	v_add_co_ci_u32_e32 v4, vcc_lo, v7, v10, vcc_lo
	s_wait_alu 0xfffd
	v_add_co_ci_u32_e32 v7, vcc_lo, 0, v15, vcc_lo
	s_delay_alu instid0(VALU_DEP_2) | instskip(SKIP_1) | instid1(VALU_DEP_2)
	v_add_co_u32 v4, vcc_lo, v4, v14
	s_wait_alu 0xfffd
	v_add_co_ci_u32_e32 v9, vcc_lo, 0, v7, vcc_lo
	s_delay_alu instid0(VALU_DEP_2) | instskip(SKIP_1) | instid1(VALU_DEP_3)
	v_mul_lo_u32 v10, s25, v4
	v_mad_co_u64_u32 v[7:8], null, s24, v4, 0
	v_mul_lo_u32 v11, s24, v9
	s_delay_alu instid0(VALU_DEP_2) | instskip(NEXT) | instid1(VALU_DEP_2)
	v_sub_co_u32 v7, vcc_lo, v5, v7
	v_add3_u32 v8, v8, v11, v10
	s_delay_alu instid0(VALU_DEP_1) | instskip(SKIP_1) | instid1(VALU_DEP_1)
	v_sub_nc_u32_e32 v10, v6, v8
	s_wait_alu 0xfffd
	v_subrev_co_ci_u32_e64 v10, s2, s25, v10, vcc_lo
	v_add_co_u32 v11, s2, v4, 2
	s_wait_alu 0xf1ff
	v_add_co_ci_u32_e64 v14, s2, 0, v9, s2
	v_sub_co_u32 v15, s2, v7, s24
	v_sub_co_ci_u32_e32 v8, vcc_lo, v6, v8, vcc_lo
	s_wait_alu 0xf1ff
	v_subrev_co_ci_u32_e64 v10, s2, 0, v10, s2
	s_delay_alu instid0(VALU_DEP_3) | instskip(NEXT) | instid1(VALU_DEP_3)
	v_cmp_le_u32_e32 vcc_lo, s24, v15
	v_cmp_eq_u32_e64 s2, s25, v8
	s_wait_alu 0xfffd
	v_cndmask_b32_e64 v15, 0, -1, vcc_lo
	v_cmp_le_u32_e32 vcc_lo, s25, v10
	s_wait_alu 0xfffd
	v_cndmask_b32_e64 v16, 0, -1, vcc_lo
	v_cmp_le_u32_e32 vcc_lo, s24, v7
	;; [unrolled: 3-line block ×3, first 2 shown]
	s_wait_alu 0xfffd
	v_cndmask_b32_e64 v17, 0, -1, vcc_lo
	v_cmp_eq_u32_e32 vcc_lo, s25, v10
	s_wait_alu 0xf1ff
	s_delay_alu instid0(VALU_DEP_2)
	v_cndmask_b32_e64 v7, v17, v7, s2
	s_wait_alu 0xfffd
	v_cndmask_b32_e32 v10, v16, v15, vcc_lo
	v_add_co_u32 v15, vcc_lo, v4, 1
	s_wait_alu 0xfffd
	v_add_co_ci_u32_e32 v16, vcc_lo, 0, v9, vcc_lo
	s_delay_alu instid0(VALU_DEP_3) | instskip(SKIP_1) | instid1(VALU_DEP_2)
	v_cmp_ne_u32_e32 vcc_lo, 0, v10
	s_wait_alu 0xfffd
	v_cndmask_b32_e32 v8, v16, v14, vcc_lo
	v_cndmask_b32_e32 v10, v15, v11, vcc_lo
	v_cmp_ne_u32_e32 vcc_lo, 0, v7
	s_wait_alu 0xfffd
	s_delay_alu instid0(VALU_DEP_2)
	v_dual_cndmask_b32 v17, v9, v8 :: v_dual_cndmask_b32 v16, v4, v10
.LBB0_4:                                ;   in Loop: Header=BB0_2 Depth=1
	s_wait_alu 0xfffe
	s_and_not1_saveexec_b32 s2, s26
	s_cbranch_execz .LBB0_6
; %bb.5:                                ;   in Loop: Header=BB0_2 Depth=1
	v_cvt_f32_u32_e32 v4, s24
	s_sub_co_i32 s26, 0, s24
	v_mov_b32_e32 v17, v3
	s_delay_alu instid0(VALU_DEP_2) | instskip(NEXT) | instid1(TRANS32_DEP_1)
	v_rcp_iflag_f32_e32 v4, v4
	v_mul_f32_e32 v4, 0x4f7ffffe, v4
	s_delay_alu instid0(VALU_DEP_1) | instskip(SKIP_1) | instid1(VALU_DEP_1)
	v_cvt_u32_f32_e32 v4, v4
	s_wait_alu 0xfffe
	v_mul_lo_u32 v7, s26, v4
	s_delay_alu instid0(VALU_DEP_1) | instskip(NEXT) | instid1(VALU_DEP_1)
	v_mul_hi_u32 v7, v4, v7
	v_add_nc_u32_e32 v4, v4, v7
	s_delay_alu instid0(VALU_DEP_1) | instskip(NEXT) | instid1(VALU_DEP_1)
	v_mul_hi_u32 v4, v5, v4
	v_mul_lo_u32 v7, v4, s24
	v_add_nc_u32_e32 v8, 1, v4
	s_delay_alu instid0(VALU_DEP_2) | instskip(NEXT) | instid1(VALU_DEP_1)
	v_sub_nc_u32_e32 v7, v5, v7
	v_subrev_nc_u32_e32 v9, s24, v7
	v_cmp_le_u32_e32 vcc_lo, s24, v7
	s_wait_alu 0xfffd
	s_delay_alu instid0(VALU_DEP_2) | instskip(NEXT) | instid1(VALU_DEP_1)
	v_dual_cndmask_b32 v7, v7, v9 :: v_dual_cndmask_b32 v4, v4, v8
	v_cmp_le_u32_e32 vcc_lo, s24, v7
	s_delay_alu instid0(VALU_DEP_2) | instskip(SKIP_1) | instid1(VALU_DEP_1)
	v_add_nc_u32_e32 v8, 1, v4
	s_wait_alu 0xfffd
	v_cndmask_b32_e32 v16, v4, v8, vcc_lo
.LBB0_6:                                ;   in Loop: Header=BB0_2 Depth=1
	s_wait_alu 0xfffe
	s_or_b32 exec_lo, exec_lo, s2
	v_mul_lo_u32 v4, v17, s24
	s_delay_alu instid0(VALU_DEP_2)
	v_mul_lo_u32 v9, v16, s25
	s_load_b64 s[26:27], s[18:19], 0x0
	v_mad_co_u64_u32 v[7:8], null, v16, s24, 0
	s_load_b64 s[24:25], s[16:17], 0x0
	s_add_nc_u64 s[20:21], s[20:21], 1
	s_add_nc_u64 s[16:17], s[16:17], 8
	s_wait_alu 0xfffe
	v_cmp_ge_u64_e64 s2, s[20:21], s[10:11]
	s_add_nc_u64 s[18:19], s[18:19], 8
	s_add_nc_u64 s[22:23], s[22:23], 8
	v_add3_u32 v4, v8, v9, v4
	v_sub_co_u32 v5, vcc_lo, v5, v7
	s_wait_alu 0xfffd
	s_delay_alu instid0(VALU_DEP_2) | instskip(SKIP_2) | instid1(VALU_DEP_1)
	v_sub_co_ci_u32_e32 v4, vcc_lo, v6, v4, vcc_lo
	s_and_b32 vcc_lo, exec_lo, s2
	s_wait_kmcnt 0x0
	v_mul_lo_u32 v6, s26, v4
	v_mul_lo_u32 v7, s27, v5
	v_mad_co_u64_u32 v[1:2], null, s26, v5, v[1:2]
	v_mul_lo_u32 v4, s24, v4
	v_mul_lo_u32 v8, s25, v5
	v_mad_co_u64_u32 v[12:13], null, s24, v5, v[12:13]
	s_delay_alu instid0(VALU_DEP_4) | instskip(NEXT) | instid1(VALU_DEP_2)
	v_add3_u32 v2, v7, v2, v6
	v_add3_u32 v13, v8, v13, v4
	s_wait_alu 0xfffe
	s_cbranch_vccnz .LBB0_9
; %bb.7:                                ;   in Loop: Header=BB0_2 Depth=1
	v_dual_mov_b32 v5, v16 :: v_dual_mov_b32 v6, v17
	s_branch .LBB0_2
.LBB0_8:
	v_dual_mov_b32 v13, v2 :: v_dual_mov_b32 v12, v1
	v_dual_mov_b32 v17, v6 :: v_dual_mov_b32 v16, v5
.LBB0_9:
	s_load_b64 s[0:1], s[0:1], 0x28
	v_mul_hi_u32 v3, 0x4924925, v0
	s_lshl_b64 s[10:11], s[10:11], 3
                                        ; implicit-def: $vgpr14
                                        ; implicit-def: $vgpr18
                                        ; implicit-def: $vgpr29
                                        ; implicit-def: $vgpr28
                                        ; implicit-def: $vgpr27
                                        ; implicit-def: $vgpr26
                                        ; implicit-def: $vgpr25
                                        ; implicit-def: $vgpr22
                                        ; implicit-def: $vgpr24
                                        ; implicit-def: $vgpr21
                                        ; implicit-def: $vgpr20
	s_wait_kmcnt 0x0
	v_cmp_gt_u64_e32 vcc_lo, s[0:1], v[16:17]
	v_cmp_le_u64_e64 s0, s[0:1], v[16:17]
	s_delay_alu instid0(VALU_DEP_1)
	s_and_saveexec_b32 s1, s0
	s_wait_alu 0xfffe
	s_xor_b32 s0, exec_lo, s1
	s_cbranch_execz .LBB0_11
; %bb.10:
	v_mul_u32_u24_e32 v1, 56, v3
                                        ; implicit-def: $vgpr3
	s_delay_alu instid0(VALU_DEP_1) | instskip(NEXT) | instid1(VALU_DEP_1)
	v_sub_nc_u32_e32 v14, v0, v1
                                        ; implicit-def: $vgpr0
                                        ; implicit-def: $vgpr1_vgpr2
	v_add_nc_u32_e32 v18, 56, v14
	v_add_nc_u32_e32 v29, 0x70, v14
	v_add_nc_u32_e32 v28, 0xa8, v14
	v_add_nc_u32_e32 v27, 0xe0, v14
	v_add_nc_u32_e32 v26, 0x118, v14
	v_add_nc_u32_e32 v25, 0x150, v14
	v_add_nc_u32_e32 v22, 0x188, v14
	v_or_b32_e32 v24, 0x1c0, v14
	v_add_nc_u32_e32 v21, 0x1f8, v14
	v_add_nc_u32_e32 v20, 0x230, v14
.LBB0_11:
	s_wait_alu 0xfffe
	s_or_saveexec_b32 s1, s0
	s_add_nc_u64 s[2:3], s[14:15], s[10:11]
	s_wait_alu 0xfffe
	s_xor_b32 exec_lo, exec_lo, s1
	s_cbranch_execz .LBB0_13
; %bb.12:
	s_add_nc_u64 s[10:11], s[12:13], s[10:11]
	v_lshlrev_b64_e32 v[1:2], 2, v[1:2]
	s_load_b64 s[10:11], s[10:11], 0x0
	s_wait_kmcnt 0x0
	v_mul_lo_u32 v6, s11, v16
	v_mul_lo_u32 v7, s10, v17
	v_mad_co_u64_u32 v[4:5], null, s10, v16, 0
	s_delay_alu instid0(VALU_DEP_1) | instskip(SKIP_1) | instid1(VALU_DEP_2)
	v_add3_u32 v5, v5, v7, v6
	v_mul_u32_u24_e32 v6, 56, v3
	v_lshlrev_b64_e32 v[3:4], 2, v[4:5]
	s_delay_alu instid0(VALU_DEP_2) | instskip(NEXT) | instid1(VALU_DEP_1)
	v_sub_nc_u32_e32 v14, v0, v6
	v_add_nc_u32_e32 v18, 56, v14
	s_delay_alu instid0(VALU_DEP_3) | instskip(SKIP_1) | instid1(VALU_DEP_4)
	v_add_co_u32 v0, s0, s4, v3
	s_wait_alu 0xf1ff
	v_add_co_ci_u32_e64 v3, s0, s5, v4, s0
	v_lshlrev_b32_e32 v4, 2, v14
	s_delay_alu instid0(VALU_DEP_3) | instskip(SKIP_1) | instid1(VALU_DEP_3)
	v_add_co_u32 v0, s0, v0, v1
	s_wait_alu 0xf1ff
	v_add_co_ci_u32_e64 v1, s0, v3, v2, s0
	v_add_nc_u32_e32 v29, 0x70, v14
	s_delay_alu instid0(VALU_DEP_3) | instskip(SKIP_1) | instid1(VALU_DEP_3)
	v_add_co_u32 v0, s0, v0, v4
	s_wait_alu 0xf1ff
	v_add_co_ci_u32_e64 v1, s0, 0, v1, s0
	s_clause 0x14
	global_load_b32 v2, v[0:1], off
	global_load_b32 v3, v[0:1], off offset:224
	global_load_b32 v5, v[0:1], off offset:448
	;; [unrolled: 1-line block ×20, first 2 shown]
	v_add_nc_u32_e32 v1, 0, v4
	v_add_nc_u32_e32 v28, 0xa8, v14
	;; [unrolled: 1-line block ×6, first 2 shown]
	v_or_b32_e32 v24, 0x1c0, v14
	v_add_nc_u32_e32 v21, 0x1f8, v14
	v_add_nc_u32_e32 v20, 0x230, v14
	;; [unrolled: 1-line block ×7, first 2 shown]
	s_wait_loadcnt 0x13
	ds_store_2addr_b32 v1, v2, v3 offset1:56
	s_wait_loadcnt 0x11
	ds_store_2addr_b32 v1, v5, v6 offset0:112 offset1:168
	s_wait_loadcnt 0xf
	ds_store_2addr_b32 v4, v7, v8 offset0:96 offset1:152
	;; [unrolled: 2-line block ×9, first 2 shown]
	s_wait_loadcnt 0x0
	ds_store_b32 v1, v0 offset:4480
.LBB0_13:
	s_or_b32 exec_lo, exec_lo, s1
	v_lshlrev_b32_e32 v15, 2, v14
	s_load_b64 s[2:3], s[2:3], 0x0
	global_wb scope:SCOPE_SE
	s_wait_dscnt 0x0
	s_wait_kmcnt 0x0
	s_barrier_signal -1
	s_barrier_wait -1
	v_add_nc_u32_e32 v23, 0, v15
	global_inv scope:SCOPE_SE
	v_lshl_add_u32 v10, v18, 3, 0
	v_lshl_add_u32 v11, v29, 3, 0
	;; [unrolled: 1-line block ×3, first 2 shown]
	v_add_nc_u32_e32 v2, 0x800, v23
	v_add_nc_u32_e32 v8, 0x1000, v23
	v_add_nc_u32_e32 v5, 0x400, v23
	v_add_nc_u32_e32 v9, 0x200, v23
	v_add_nc_u32_e32 v7, 0xe00, v23
	v_add_nc_u32_e32 v6, 0xc00, v23
	ds_load_2addr_b32 v[0:1], v2 offset0:48 offset1:76
	ds_load_2addr_b32 v[3:4], v8 offset0:68 offset1:124
	ds_load_2addr_b32 v[36:37], v5 offset0:192 offset1:248
	ds_load_2addr_b32 v[38:39], v7 offset0:84 offset1:140
	ds_load_2addr_b32 v[41:42], v5 offset0:80 offset1:136
	ds_load_2addr_b32 v[43:44], v6 offset0:100 offset1:156
	v_add_nc_u32_e32 v5, 0xa00, v23
	ds_load_2addr_b32 v[45:46], v9 offset0:96 offset1:152
	v_lshl_add_u32 v32, v27, 3, 0
	ds_load_2addr_b32 v[47:48], v5 offset0:116 offset1:172
	ds_load_2addr_b32 v[49:50], v23 offset0:112 offset1:168
	;; [unrolled: 1-line block ×3, first 2 shown]
	ds_load_2addr_b32 v[53:54], v23 offset1:56
	v_lshl_add_u32 v30, v26, 3, 0
	v_lshl_add_u32 v19, v25, 3, 0
	;; [unrolled: 1-line block ×5, first 2 shown]
	v_add_nc_u32_e32 v5, v23, v15
	v_cmp_gt_u32_e64 s0, 28, v14
	global_wb scope:SCOPE_SE
	s_wait_dscnt 0x0
	s_barrier_signal -1
	v_pk_add_f16 v40, v0, v4 neg_lo:[0,1] neg_hi:[0,1]
	v_pk_add_f16 v3, v37, v3 neg_lo:[0,1] neg_hi:[0,1]
	;; [unrolled: 1-line block ×5, first 2 shown]
	v_pk_fma_f16 v39, v0, 2.0, v40 op_sel_hi:[1,0,1] neg_lo:[0,0,1] neg_hi:[0,0,1]
	v_pk_add_f16 v0, v46, v43 neg_lo:[0,1] neg_hi:[0,1]
	v_pk_add_f16 v43, v45, v48 neg_lo:[0,1] neg_hi:[0,1]
	;; [unrolled: 1-line block ×3, first 2 shown]
	v_pk_fma_f16 v38, v42, 2.0, v7 op_sel_hi:[1,0,1] neg_lo:[0,0,1] neg_hi:[0,0,1]
	v_pk_add_f16 v1, v53, v1 neg_lo:[0,1] neg_hi:[0,1]
	v_pk_add_f16 v47, v54, v51 neg_lo:[0,1] neg_hi:[0,1]
	v_pk_fma_f16 v42, v46, 2.0, v0 op_sel_hi:[1,0,1] neg_lo:[0,0,1] neg_hi:[0,0,1]
	v_pk_add_f16 v46, v49, v52 neg_lo:[0,1] neg_hi:[0,1]
	v_pk_fma_f16 v41, v41, 2.0, v9 op_sel_hi:[1,0,1] neg_lo:[0,0,1] neg_hi:[0,0,1]
	v_pk_fma_f16 v51, v53, 2.0, v1 op_sel_hi:[1,0,1] neg_lo:[0,0,1] neg_hi:[0,0,1]
	v_pk_fma_f16 v48, v50, 2.0, v44 op_sel_hi:[1,0,1] neg_lo:[0,0,1] neg_hi:[0,0,1]
	v_pk_fma_f16 v50, v54, 2.0, v47 op_sel_hi:[1,0,1] neg_lo:[0,0,1] neg_hi:[0,0,1]
	v_pk_fma_f16 v36, v36, 2.0, v4 op_sel_hi:[1,0,1] neg_lo:[0,0,1] neg_hi:[0,0,1]
	v_pk_fma_f16 v49, v49, 2.0, v46 op_sel_hi:[1,0,1] neg_lo:[0,0,1] neg_hi:[0,0,1]
	v_pk_fma_f16 v37, v37, 2.0, v3 op_sel_hi:[1,0,1] neg_lo:[0,0,1] neg_hi:[0,0,1]
	v_pk_fma_f16 v45, v45, 2.0, v43 op_sel_hi:[1,0,1] neg_lo:[0,0,1] neg_hi:[0,0,1]
	s_barrier_wait -1
	global_inv scope:SCOPE_SE
	ds_store_2addr_b32 v5, v51, v1 offset1:1
	ds_store_2addr_b32 v10, v50, v47 offset1:1
	ds_store_2addr_b32 v11, v49, v46 offset1:1
	ds_store_2addr_b32 v31, v48, v44 offset1:1
	ds_store_2addr_b32 v32, v45, v43 offset1:1
	ds_store_2addr_b32 v30, v42, v0 offset1:1
	ds_store_2addr_b32 v19, v41, v9 offset1:1
	ds_store_2addr_b32 v35, v38, v7 offset1:1
	ds_store_2addr_b32 v34, v36, v4 offset1:1
	ds_store_2addr_b32 v33, v37, v3 offset1:1
	s_and_saveexec_b32 s1, s0
	s_cbranch_execz .LBB0_15
; %bb.14:
	v_lshl_add_u32 v0, v20, 3, 0
	ds_store_2addr_b32 v0, v39, v40 offset1:1
.LBB0_15:
	s_wait_alu 0xfffe
	s_or_b32 exec_lo, exec_lo, s1
	v_lshlrev_b32_e32 v36, 2, v18
	v_lshlrev_b32_e32 v56, 2, v29
	;; [unrolled: 1-line block ×9, first 2 shown]
	v_sub_nc_u32_e32 v9, v10, v36
	v_sub_nc_u32_e32 v37, v11, v56
	;; [unrolled: 1-line block ×6, first 2 shown]
	global_wb scope:SCOPE_SE
	s_wait_dscnt 0x0
	s_barrier_signal -1
	s_barrier_wait -1
	global_inv scope:SCOPE_SE
	ds_load_2addr_b32 v[0:1], v2 offset0:76 offset1:132
	ds_load_2addr_b32 v[2:3], v2 offset0:188 offset1:244
	;; [unrolled: 1-line block ×4, first 2 shown]
	v_sub_nc_u32_e32 v48, v35, v65
	v_sub_nc_u32_e32 v49, v34, v73
	;; [unrolled: 1-line block ×3, first 2 shown]
	ds_load_b32 v41, v23
	ds_load_b32 v42, v9
	;; [unrolled: 1-line block ×8, first 2 shown]
	ds_load_2addr_b32 v[8:9], v8 offset0:12 offset1:68
	ds_load_b32 v62, v49
	ds_load_b32 v58, v50
	v_lshlrev_b32_e32 v37, 1, v18
	v_lshlrev_b32_e32 v48, 1, v29
	;; [unrolled: 1-line block ×9, first 2 shown]
	v_lshrrev_b32_e32 v57, 16, v40
	v_lshl_add_u32 v38, v20, 2, 0
	s_and_saveexec_b32 s1, s0
	s_cbranch_execz .LBB0_17
; %bb.16:
	ds_load_b32 v40, v23 offset:4592
	ds_load_b32 v39, v38
	s_wait_dscnt 0x1
	v_lshrrev_b32_e32 v57, 16, v40
.LBB0_17:
	s_wait_alu 0xfffe
	s_or_b32 exec_lo, exec_lo, s1
	v_and_b32_e32 v71, 1, v14
	v_sub_nc_u32_e32 v70, 0, v56
	v_lshlrev_b32_e32 v56, 1, v14
	v_sub_nc_u32_e32 v68, 0, v59
	v_sub_nc_u32_e32 v69, 0, v60
	v_lshlrev_b32_e32 v66, 2, v71
	s_wait_dscnt 0x0
	v_lshrrev_b32_e32 v60, 16, v39
	v_and_or_b32 v59, 0x7c, v56, v71
	v_sub_nc_u32_e32 v67, 0, v63
	v_sub_nc_u32_e32 v63, 0, v74
	global_load_b32 v75, v66, s[8:9]
	v_sub_nc_u32_e32 v66, 0, v64
	v_lshl_add_u32 v83, v59, 2, 0
	v_sub_nc_u32_e32 v64, 0, v65
	v_sub_nc_u32_e32 v65, 0, v73
	v_and_or_b32 v73, 0xfc, v37, v71
	v_and_or_b32 v74, 0x1fc, v48, v71
	;; [unrolled: 1-line block ×4, first 2 shown]
	v_sub_nc_u32_e32 v72, 0, v36
	v_lshlrev_b32_e32 v36, 1, v20
	v_and_or_b32 v78, 0x2fc, v51, v71
	v_and_or_b32 v79, 0x3fc, v52, v71
	;; [unrolled: 1-line block ×5, first 2 shown]
	v_lshl_add_u32 v73, v73, 2, 0
	v_lshl_add_u32 v74, v74, 2, 0
	;; [unrolled: 1-line block ×9, first 2 shown]
	global_wb scope:SCOPE_SE
	s_wait_loadcnt 0x0
	s_barrier_signal -1
	s_barrier_wait -1
	global_inv scope:SCOPE_SE
	v_pk_mul_f16 v59, v75, v9 op_sel:[0,1]
	v_lshrrev_b32_e32 v84, 16, v75
	v_pk_mul_f16 v85, v75, v0 op_sel:[0,1]
	v_pk_mul_f16 v86, v75, v1 op_sel:[0,1]
	v_pk_mul_f16 v87, v75, v2 op_sel:[0,1]
	v_pk_mul_f16 v88, v75, v3 op_sel:[0,1]
	v_pk_mul_f16 v89, v75, v4 op_sel:[0,1]
	v_pk_mul_f16 v90, v75, v5 op_sel:[0,1]
	v_pk_mul_f16 v91, v75, v6 op_sel:[0,1]
	v_pk_mul_f16 v92, v75, v7 op_sel:[0,1]
	v_pk_mul_f16 v93, v75, v8 op_sel:[0,1]
	v_pk_fma_f16 v94, v75, v9, v59 op_sel:[0,0,1] op_sel_hi:[1,1,0] neg_lo:[0,0,1] neg_hi:[0,0,1]
	v_pk_fma_f16 v9, v75, v9, v59 op_sel:[0,0,1] op_sel_hi:[1,0,0]
	v_mul_f16_e32 v59, v57, v84
	v_mul_f16_e32 v84, v40, v84
	v_pk_fma_f16 v95, v75, v0, v85 op_sel:[0,0,1] op_sel_hi:[1,1,0] neg_lo:[0,0,1] neg_hi:[0,0,1]
	v_pk_fma_f16 v0, v75, v0, v85 op_sel:[0,0,1] op_sel_hi:[1,0,0]
	v_pk_fma_f16 v85, v75, v1, v86 op_sel:[0,0,1] op_sel_hi:[1,1,0] neg_lo:[0,0,1] neg_hi:[0,0,1]
	v_pk_fma_f16 v1, v75, v1, v86 op_sel:[0,0,1] op_sel_hi:[1,0,0]
	;; [unrolled: 2-line block ×9, first 2 shown]
	v_bfi_b32 v9, 0xffff, v94, v9
	v_fma_f16 v40, v40, v75, -v59
	v_fmac_f16_e32 v84, v57, v75
	v_bfi_b32 v0, 0xffff, v95, v0
	v_bfi_b32 v1, 0xffff, v85, v1
	;; [unrolled: 1-line block ×9, first 2 shown]
	v_pk_add_f16 v9, v58, v9 neg_lo:[0,1] neg_hi:[0,1]
	v_sub_f16_e32 v57, v39, v40
	v_sub_f16_e32 v59, v60, v84
	v_pk_add_f16 v0, v41, v0 neg_lo:[0,1] neg_hi:[0,1]
	v_pk_add_f16 v1, v42, v1 neg_lo:[0,1] neg_hi:[0,1]
	;; [unrolled: 1-line block ×9, first 2 shown]
	v_pk_fma_f16 v40, v58, 2.0, v9 op_sel_hi:[1,0,1] neg_lo:[0,0,1] neg_hi:[0,0,1]
	v_fma_f16 v58, v39, 2.0, -v57
	v_fma_f16 v60, v60, 2.0, -v59
	v_pk_fma_f16 v39, v41, 2.0, v0 op_sel_hi:[1,0,1] neg_lo:[0,0,1] neg_hi:[0,0,1]
	v_pk_fma_f16 v41, v42, 2.0, v1 op_sel_hi:[1,0,1] neg_lo:[0,0,1] neg_hi:[0,0,1]
	;; [unrolled: 1-line block ×9, first 2 shown]
	ds_store_2addr_b32 v83, v39, v0 offset1:2
	ds_store_2addr_b32 v73, v41, v1 offset1:2
	;; [unrolled: 1-line block ×10, first 2 shown]
	s_and_saveexec_b32 s1, s0
	s_cbranch_execz .LBB0_19
; %bb.18:
	v_and_or_b32 v0, 0x4fc, v36, v71
	v_perm_b32 v1, v60, v58, 0x5040100
	v_perm_b32 v2, v59, v57, 0x5040100
	s_delay_alu instid0(VALU_DEP_3)
	v_lshl_add_u32 v0, v0, 2, 0
	ds_store_2addr_b32 v0, v1, v2 offset1:2
.LBB0_19:
	s_wait_alu 0xfffe
	s_or_b32 exec_lo, exec_lo, s1
	v_add_nc_u32_e32 v2, 0x800, v23
	v_add_nc_u32_e32 v6, 0xc00, v23
	;; [unrolled: 1-line block ×7, first 2 shown]
	global_wb scope:SCOPE_SE
	s_wait_dscnt 0x0
	s_barrier_signal -1
	s_barrier_wait -1
	global_inv scope:SCOPE_SE
	ds_load_2addr_b32 v[0:1], v2 offset0:76 offset1:132
	ds_load_2addr_b32 v[4:5], v2 offset0:188 offset1:244
	;; [unrolled: 1-line block ×3, first 2 shown]
	v_add_nc_u32_e32 v43, v30, v67
	v_add_nc_u32_e32 v42, v19, v66
	ds_load_2addr_b32 v[6:7], v6 offset0:156 offset1:212
	v_add_nc_u32_e32 v41, v35, v64
	v_add_nc_u32_e32 v40, v34, v65
	;; [unrolled: 1-line block ×3, first 2 shown]
	ds_load_b32 v10, v23
	ds_load_b32 v11, v47
	;; [unrolled: 1-line block ×8, first 2 shown]
	ds_load_2addr_b32 v[8:9], v8 offset0:12 offset1:68
	ds_load_b32 v35, v40
	ds_load_b32 v62, v39
	s_and_saveexec_b32 s1, s0
	s_cbranch_execz .LBB0_21
; %bb.20:
	ds_load_b32 v58, v38
	ds_load_b32 v57, v23 offset:4592
	s_wait_dscnt 0x1
	v_lshrrev_b32_e32 v60, 16, v58
	s_wait_dscnt 0x0
	v_lshrrev_b32_e32 v59, 16, v57
.LBB0_21:
	s_wait_alu 0xfffe
	s_or_b32 exec_lo, exec_lo, s1
	v_and_b32_e32 v61, 3, v14
	s_delay_alu instid0(VALU_DEP_1)
	v_lshlrev_b32_e32 v63, 2, v61
	v_and_or_b32 v56, 0x78, v56, v61
	v_and_or_b32 v37, 0xf8, v37, v61
	;; [unrolled: 1-line block ×4, first 2 shown]
	global_load_b32 v63, v63, s[8:9] offset:8
	v_and_or_b32 v50, 0x3f8, v50, v61
	v_and_or_b32 v51, 0x2f8, v51, v61
	;; [unrolled: 1-line block ×6, first 2 shown]
	v_lshl_add_u32 v56, v56, 2, 0
	v_lshl_add_u32 v37, v37, 2, 0
	v_lshl_add_u32 v48, v48, 2, 0
	v_lshl_add_u32 v49, v49, 2, 0
	v_lshl_add_u32 v50, v50, 2, 0
	v_lshl_add_u32 v51, v51, 2, 0
	v_lshl_add_u32 v52, v52, 2, 0
	v_lshl_add_u32 v53, v53, 2, 0
	v_lshl_add_u32 v54, v54, 2, 0
	v_lshl_add_u32 v55, v55, 2, 0
	global_wb scope:SCOPE_SE
	s_wait_loadcnt_dscnt 0x0
	s_barrier_signal -1
	s_barrier_wait -1
	global_inv scope:SCOPE_SE
	v_pk_mul_f16 v64, v63, v9 op_sel:[0,1]
	v_pk_mul_f16 v65, v63, v0 op_sel:[0,1]
	;; [unrolled: 1-line block ×10, first 2 shown]
	v_pk_fma_f16 v74, v63, v9, v64 op_sel:[0,0,1] op_sel_hi:[1,1,0] neg_lo:[0,0,1] neg_hi:[0,0,1]
	v_pk_fma_f16 v9, v63, v9, v64 op_sel:[0,0,1] op_sel_hi:[1,0,0]
	v_pk_fma_f16 v64, v63, v0, v65 op_sel:[0,0,1] op_sel_hi:[1,1,0] neg_lo:[0,0,1] neg_hi:[0,0,1]
	v_pk_fma_f16 v0, v63, v0, v65 op_sel:[0,0,1] op_sel_hi:[1,0,0]
	;; [unrolled: 2-line block ×10, first 2 shown]
	v_bfi_b32 v0, 0xffff, v64, v0
	v_bfi_b32 v1, 0xffff, v65, v1
	;; [unrolled: 1-line block ×10, first 2 shown]
	v_pk_add_f16 v0, v10, v0 neg_lo:[0,1] neg_hi:[0,1]
	v_pk_add_f16 v1, v11, v1 neg_lo:[0,1] neg_hi:[0,1]
	;; [unrolled: 1-line block ×10, first 2 shown]
	v_pk_fma_f16 v10, v10, 2.0, v0 op_sel_hi:[1,0,1] neg_lo:[0,0,1] neg_hi:[0,0,1]
	v_pk_fma_f16 v11, v11, 2.0, v1 op_sel_hi:[1,0,1] neg_lo:[0,0,1] neg_hi:[0,0,1]
	;; [unrolled: 1-line block ×10, first 2 shown]
	ds_store_2addr_b32 v56, v10, v0 offset1:4
	ds_store_2addr_b32 v37, v11, v1 offset1:4
	;; [unrolled: 1-line block ×10, first 2 shown]
	s_and_saveexec_b32 s1, s0
	s_cbranch_execz .LBB0_23
; %bb.22:
	v_lshrrev_b32_e32 v0, 16, v63
	v_and_or_b32 v2, 0x4f8, v36, v61
	s_delay_alu instid0(VALU_DEP_2) | instskip(SKIP_1) | instid1(VALU_DEP_3)
	v_mul_f16_e32 v1, v59, v0
	v_mul_f16_e32 v0, v57, v0
	v_lshl_add_u32 v2, v2, 2, 0
	s_delay_alu instid0(VALU_DEP_3) | instskip(NEXT) | instid1(VALU_DEP_3)
	v_fma_f16 v1, v57, v63, -v1
	v_fmac_f16_e32 v0, v59, v63
	s_delay_alu instid0(VALU_DEP_2) | instskip(NEXT) | instid1(VALU_DEP_2)
	v_sub_f16_e32 v1, v58, v1
	v_sub_f16_e32 v0, v60, v0
	s_delay_alu instid0(VALU_DEP_2) | instskip(NEXT) | instid1(VALU_DEP_2)
	v_fma_f16 v3, v58, 2.0, -v1
	v_fma_f16 v4, v60, 2.0, -v0
	v_pack_b32_f16 v0, v1, v0
	s_delay_alu instid0(VALU_DEP_2)
	v_pack_b32_f16 v3, v3, v4
	ds_store_2addr_b32 v2, v3, v0 offset1:4
.LBB0_23:
	s_wait_alu 0xfffe
	s_or_b32 exec_lo, exec_lo, s1
	v_and_b32_e32 v52, 7, v14
	global_wb scope:SCOPE_SE
	s_wait_dscnt 0x0
	s_barrier_signal -1
	s_barrier_wait -1
	global_inv scope:SCOPE_SE
	v_lshlrev_b32_e32 v0, 3, v52
	v_add_nc_u32_e32 v19, 0xa00, v23
	v_add_nc_u32_e32 v50, 0xc00, v23
	;; [unrolled: 1-line block ×4, first 2 shown]
	global_load_b64 v[2:3], v0, s[8:9] offset:24
	ds_load_2addr_stride64_b32 v[0:1], v23 offset1:7
	ds_load_b32 v9, v47
	ds_load_b32 v8, v46
	;; [unrolled: 1-line block ×7, first 2 shown]
	v_lshrrev_b32_e32 v53, 3, v14
	v_lshrrev_b32_e32 v54, 3, v18
	;; [unrolled: 1-line block ×3, first 2 shown]
	v_and_b32_e32 v63, 0xff, v14
	v_and_b32_e32 v64, 0xff, v18
	v_add_nc_u32_e32 v51, 0x1000, v23
	v_and_b32_e32 v65, 0xff, v29
	ds_load_2addr_b32 v[10:11], v19 offset0:88 offset1:144
	ds_load_2addr_b32 v[30:31], v50 offset0:72 offset1:128
	;; [unrolled: 1-line block ×6, first 2 shown]
	v_lshrrev_b32_e32 v56, 3, v28
	v_lshrrev_b32_e32 v57, 3, v27
	;; [unrolled: 1-line block ×4, first 2 shown]
	v_mul_u32_u24_e32 v53, 24, v53
	v_mul_lo_u32 v66, v54, 24
	v_mul_lo_u32 v67, v55, 24
	v_mul_lo_u16 v54, 0xab, v63
	v_mul_lo_u16 v55, 0xab, v64
	;; [unrolled: 1-line block ×3, first 2 shown]
	v_mul_lo_u32 v56, v56, 24
	v_mul_lo_u32 v57, v57, 24
	;; [unrolled: 1-line block ×4, first 2 shown]
	v_or_b32_e32 v64, v53, v52
	v_lshrrev_b16 v53, 12, v54
	v_lshrrev_b16 v54, 12, v55
	;; [unrolled: 1-line block ×3, first 2 shown]
	v_or_b32_e32 v63, v66, v52
	v_or_b32_e32 v65, v67, v52
	;; [unrolled: 1-line block ×6, first 2 shown]
	v_lshl_add_u32 v62, v64, 2, 0
	v_mul_lo_u16 v64, v53, 24
	v_mul_lo_u16 v66, v54, 24
	;; [unrolled: 1-line block ×3, first 2 shown]
	s_wait_dscnt 0x7
	v_lshrrev_b32_e32 v78, 16, v61
	s_wait_dscnt 0x5
	v_lshrrev_b32_e32 v87, 16, v11
	v_lshrrev_b32_e32 v79, 16, v1
	s_wait_dscnt 0x4
	v_lshrrev_b32_e32 v88, 16, v30
	v_lshl_add_u32 v68, v56, 2, 0
	v_lshl_add_u32 v69, v57, 2, 0
	v_sub_nc_u16 v56, v14, v64
	v_sub_nc_u16 v57, v18, v66
	s_wait_dscnt 0x3
	v_lshrrev_b32_e32 v64, 16, v32
	v_lshrrev_b32_e32 v66, 16, v31
	v_lshl_add_u32 v70, v58, 2, 0
	v_sub_nc_u16 v58, v29, v67
	v_lshrrev_b32_e32 v67, 16, v33
	s_wait_dscnt 0x2
	v_lshrrev_b32_e32 v80, 16, v34
	s_wait_dscnt 0x1
	v_lshrrev_b32_e32 v81, 16, v36
	v_lshrrev_b32_e32 v82, 16, v35
	;; [unrolled: 1-line block ×3, first 2 shown]
	s_wait_dscnt 0x0
	v_lshrrev_b32_e32 v84, 16, v59
	v_lshrrev_b32_e32 v85, 16, v10
	;; [unrolled: 1-line block ×10, first 2 shown]
	v_and_b32_e32 v56, 0xff, v56
	v_and_b32_e32 v57, 0xff, v57
	v_lshl_add_u32 v63, v63, 2, 0
	v_lshl_add_u32 v65, v65, 2, 0
	global_wb scope:SCOPE_SE
	s_wait_loadcnt 0x0
	v_mul_u32_u24_e32 v89, 6, v56
	s_barrier_signal -1
	s_barrier_wait -1
	global_inv scope:SCOPE_SE
	v_lshl_add_u32 v52, v52, 2, 0
	v_lshlrev_b32_e32 v89, 2, v89
	v_mul_u32_u24_e32 v92, 6, v57
	v_and_b32_e32 v58, 0xff, v58
	v_and_b32_e32 v55, 0xffff, v55
	s_mov_b32 s4, exec_lo
	v_lshrrev_b32_e32 v90, 16, v2
	v_lshrrev_b32_e32 v91, 16, v3
	s_delay_alu instid0(VALU_DEP_2) | instskip(SKIP_1) | instid1(VALU_DEP_3)
	v_mul_f16_e32 v93, v90, v78
	v_mul_f16_e32 v94, v90, v61
	;; [unrolled: 1-line block ×28, first 2 shown]
	v_fma_f16 v61, v2, v61, -v93
	v_fmac_f16_e32 v94, v2, v78
	v_fma_f16 v11, v3, v11, -v95
	v_fmac_f16_e32 v96, v3, v87
	;; [unrolled: 2-line block ×14, first 2 shown]
	v_add_f16_e32 v60, v61, v11
	v_add_f16_e32 v67, v94, v96
	;; [unrolled: 1-line block ×7, first 2 shown]
	v_sub_f16_e32 v64, v94, v96
	v_add_f16_e32 v66, v71, v94
	v_sub_f16_e32 v61, v61, v11
	v_add_f16_e32 v78, v9, v1
	;; [unrolled: 2-line block ×3, first 2 shown]
	v_add_f16_e32 v83, v8, v32
	v_sub_f16_e32 v85, v102, v104
	v_add_f16_e32 v86, v73, v102
	v_add_f16_e32 v93, v33, v34
	v_sub_f16_e32 v94, v106, v108
	v_add_f16_e32 v95, v74, v106
	v_add_f16_e32 v97, v106, v108
	v_add_f16_e32 v98, v5, v36
	v_add_f16_e32 v99, v36, v35
	v_sub_f16_e32 v101, v110, v112
	v_add_f16_e32 v102, v75, v110
	v_add_f16_e32 v103, v110, v112
	;; [unrolled: 1-line block ×3, first 2 shown]
	v_sub_f16_e32 v107, v114, v116
	v_add_f16_e32 v109, v76, v114
	v_add_f16_e32 v110, v114, v116
	;; [unrolled: 1-line block ×3, first 2 shown]
	v_sub_f16_e32 v114, v90, v91
	v_add_f16_e32 v115, v77, v90
	v_add_f16_e32 v90, v90, v91
	v_fmac_f16_e32 v0, -0.5, v60
	v_fmac_f16_e32 v71, -0.5, v67
	v_sub_f16_e32 v1, v1, v30
	v_add_f16_e32 v88, v7, v33
	v_add_f16_e32 v105, v4, v37
	v_fmac_f16_e32 v9, -0.5, v79
	v_fmac_f16_e32 v72, -0.5, v82
	v_sub_f16_e32 v32, v32, v31
	v_fmac_f16_e32 v8, -0.5, v84
	v_fmac_f16_e32 v73, -0.5, v87
	v_sub_f16_e32 v33, v33, v34
	v_sub_f16_e32 v36, v36, v35
	;; [unrolled: 1-line block ×3, first 2 shown]
	v_add_f16_e32 v111, v6, v10
	v_sub_f16_e32 v10, v10, v2
	v_add_f16_e32 v3, v3, v11
	v_add_f16_e32 v11, v66, v96
	;; [unrolled: 1-line block ×5, first 2 shown]
	v_fmac_f16_e32 v7, -0.5, v93
	v_fmac_f16_e32 v74, -0.5, v97
	v_add_f16_e32 v35, v98, v35
	v_fmac_f16_e32 v5, -0.5, v99
	v_add_f16_e32 v78, v102, v112
	v_fmac_f16_e32 v75, -0.5, v103
	v_fmac_f16_e32 v4, -0.5, v106
	;; [unrolled: 1-line block ×5, first 2 shown]
	v_fmamk_f16 v82, v64, 0x3aee, v0
	v_fmac_f16_e32 v0, 0xbaee, v64
	v_fmamk_f16 v64, v61, 0xbaee, v71
	v_fmac_f16_e32 v71, 0x3aee, v61
	v_add_f16_e32 v60, v81, v100
	v_add_f16_e32 v34, v88, v34
	;; [unrolled: 1-line block ×5, first 2 shown]
	v_fmamk_f16 v61, v80, 0x3aee, v9
	v_fmac_f16_e32 v9, 0xbaee, v80
	v_fmamk_f16 v80, v1, 0xbaee, v72
	v_fmac_f16_e32 v72, 0x3aee, v1
	;; [unrolled: 2-line block ×4, first 2 shown]
	v_add_f16_e32 v2, v111, v2
	v_add_f16_e32 v81, v115, v91
	v_fmamk_f16 v32, v94, 0x3aee, v7
	v_fmac_f16_e32 v7, 0xbaee, v94
	v_fmamk_f16 v84, v33, 0xbaee, v74
	v_fmac_f16_e32 v74, 0x3aee, v33
	;; [unrolled: 2-line block ×8, first 2 shown]
	v_pack_b32_f16 v3, v3, v11
	v_pack_b32_f16 v11, v31, v66
	;; [unrolled: 1-line block ×21, first 2 shown]
	ds_store_2addr_b32 v62, v3, v35 offset1:8
	ds_store_b32 v62, v0 offset:64
	ds_store_2addr_b32 v63, v10, v59 offset1:8
	ds_store_b32 v63, v9 offset:64
	;; [unrolled: 2-line block ×7, first 2 shown]
	v_mov_b32_e32 v31, 0
	global_wb scope:SCOPE_SE
	s_wait_dscnt 0x0
	s_barrier_signal -1
	s_barrier_wait -1
	global_inv scope:SCOPE_SE
	global_load_b128 v[8:11], v89, s[8:9] offset:88
	v_lshlrev_b32_e32 v0, 2, v92
	s_clause 0x1
	global_load_b64 v[34:35], v89, s[8:9] offset:104
	global_load_b128 v[4:7], v0, s[8:9] offset:88
	v_mul_u32_u24_e32 v1, 6, v58
	v_mul_u32_u24_e32 v61, 6, v14
	v_and_b32_e32 v63, 0xffff, v54
	v_mul_u32_u24_e32 v72, 0x2a0, v55
	v_lshlrev_b32_e32 v69, 2, v56
	v_lshlrev_b32_e32 v30, 2, v1
	s_clause 0x2
	global_load_b64 v[32:33], v0, s[8:9] offset:104
	global_load_b128 v[0:3], v30, s[8:9] offset:88
	global_load_b64 v[36:37], v30, s[8:9] offset:104
	v_mul_i32_i24_e32 v30, 6, v18
	v_lshlrev_b32_e32 v73, 2, v61
	v_mul_u32_u24_e32 v71, 0x2a0, v63
	v_lshlrev_b32_e32 v74, 2, v57
	v_lshlrev_b32_e32 v75, 2, v58
	v_lshlrev_b64_e32 v[59:60], 2, v[30:31]
	v_mul_i32_i24_e32 v30, 6, v29
	v_add_nc_u32_e32 v52, 0x400, v23
	v_add3_u32 v74, 0, v71, v74
	v_add3_u32 v75, 0, v72, v75
	s_delay_alu instid0(VALU_DEP_4) | instskip(SKIP_4) | instid1(VALU_DEP_3)
	v_lshlrev_b64_e32 v[61:62], 2, v[30:31]
	v_and_b32_e32 v30, 0xffff, v53
	v_add_co_u32 v53, s1, s8, v59
	s_wait_alu 0xf1ff
	v_add_co_ci_u32_e64 v54, s1, s9, v60, s1
	v_mul_u32_u24_e32 v30, 0x2a0, v30
	ds_load_2addr_b32 v[55:56], v50 offset0:72 offset1:128
	ds_load_2addr_b32 v[57:58], v50 offset0:184 offset1:240
	ds_load_2addr_b32 v[59:60], v23 offset1:224
	ds_load_2addr_b32 v[63:64], v52 offset0:24 offset1:136
	ds_load_2addr_b32 v[65:66], v49 offset0:64 offset1:176
	;; [unrolled: 1-line block ×3, first 2 shown]
	v_add3_u32 v30, 0, v30, v69
	ds_load_2addr_b32 v[69:70], v51 offset0:40 offset1:96
	ds_load_2addr_b32 v[71:72], v48 offset0:104 offset1:160
	ds_load_b32 v76, v39
	ds_load_b32 v77, v47
	;; [unrolled: 1-line block ×5, first 2 shown]
	global_wb scope:SCOPE_SE
	s_wait_loadcnt_dscnt 0x0
	s_barrier_signal -1
	s_barrier_wait -1
	global_inv scope:SCOPE_SE
	v_lshrrev_b32_e32 v81, 16, v55
	v_lshrrev_b32_e32 v82, 16, v58
	;; [unrolled: 1-line block ×26, first 2 shown]
	v_mul_f16_e32 v114, v102, v95
	v_mul_f16_e32 v102, v102, v79
	;; [unrolled: 1-line block ×4, first 2 shown]
	v_lshrrev_b32_e32 v108, 16, v4
	v_fma_f16 v79, v8, v79, -v114
	v_fmac_f16_e32 v102, v8, v95
	v_mul_f16_e32 v8, v104, v97
	v_fma_f16 v78, v9, v78, -v117
	v_mul_f16_e32 v104, v104, v76
	v_fmac_f16_e32 v103, v9, v96
	v_mul_f16_e32 v9, v105, v72
	v_lshrrev_b32_e32 v107, 16, v35
	v_lshrrev_b32_e32 v109, 16, v5
	;; [unrolled: 1-line block ×4, first 2 shown]
	v_mul_f16_e32 v96, v105, v98
	v_fmac_f16_e32 v104, v10, v97
	v_fmac_f16_e32 v9, v11, v98
	v_mul_f16_e32 v97, v81, v106
	v_mul_f16_e32 v98, v55, v106
	;; [unrolled: 1-line block ×3, first 2 shown]
	v_lshrrev_b32_e32 v112, 16, v32
	v_lshrrev_b32_e32 v113, 16, v33
	;; [unrolled: 1-line block ×6, first 2 shown]
	v_fma_f16 v8, v10, v76, -v8
	v_lshrrev_b32_e32 v76, 16, v36
	v_lshrrev_b32_e32 v10, 16, v37
	v_fma_f16 v11, v11, v72, -v96
	v_mul_f16_e32 v72, v82, v107
	v_mul_f16_e32 v96, v58, v107
	;; [unrolled: 1-line block ×7, first 2 shown]
	v_fmac_f16_e32 v106, v83, v4
	v_mul_f16_e32 v83, v86, v111
	v_mul_f16_e32 v111, v67, v111
	v_fmac_f16_e32 v108, v84, v5
	v_mul_f16_e32 v84, v87, v112
	v_mul_f16_e32 v112, v56, v112
	;; [unrolled: 3-line block ×4, first 2 shown]
	v_fma_f16 v4, v60, v4, -v105
	v_fma_f16 v5, v64, v5, -v107
	;; [unrolled: 1-line block ×4, first 2 shown]
	v_mul_f16_e32 v60, v90, v116
	v_mul_f16_e32 v64, v65, v116
	;; [unrolled: 1-line block ×8, first 2 shown]
	v_fmac_f16_e32 v98, v81, v34
	v_mul_f16_e32 v81, v94, v10
	v_mul_f16_e32 v10, v70, v10
	v_fma_f16 v34, v55, v34, -v97
	v_fma_f16 v55, v58, v35, -v72
	v_fmac_f16_e32 v96, v82, v35
	v_fma_f16 v35, v56, v32, -v84
	v_fmac_f16_e32 v112, v87, v32
	;; [unrolled: 2-line block ×9, first 2 shown]
	v_add_f16_e32 v37, v79, v55
	v_add_f16_e32 v56, v102, v96
	;; [unrolled: 1-line block ×4, first 2 shown]
	v_sub_f16_e32 v55, v79, v55
	v_sub_f16_e32 v57, v102, v96
	;; [unrolled: 1-line block ×4, first 2 shown]
	v_add_f16_e32 v65, v8, v11
	v_add_f16_e32 v66, v104, v9
	v_sub_f16_e32 v8, v11, v8
	v_sub_f16_e32 v9, v9, v104
	v_add_f16_e32 v11, v4, v32
	v_add_f16_e32 v68, v106, v113
	v_sub_f16_e32 v4, v4, v32
	v_sub_f16_e32 v32, v106, v113
	;; [unrolled: 4-line block ×4, first 2 shown]
	v_add_f16_e32 v78, v33, v36
	v_add_f16_e32 v79, v115, v10
	v_sub_f16_e32 v33, v33, v36
	v_add_f16_e32 v36, v0, v3
	v_add_f16_e32 v81, v64, v76
	v_sub_f16_e32 v0, v0, v3
	v_sub_f16_e32 v3, v64, v76
	v_add_f16_e32 v64, v1, v2
	v_add_f16_e32 v76, v67, v95
	v_sub_f16_e32 v1, v2, v1
	;; [unrolled: 4-line block ×3, first 2 shown]
	v_sub_f16_e32 v84, v60, v56
	v_sub_f16_e32 v37, v37, v65
	;; [unrolled: 1-line block ×5, first 2 shown]
	v_add_f16_e32 v85, v8, v34
	v_add_f16_e32 v86, v9, v63
	v_sub_f16_e32 v87, v8, v34
	v_sub_f16_e32 v88, v9, v63
	v_sub_f16_e32 v34, v34, v55
	v_sub_f16_e32 v63, v63, v57
	v_add_f16_e32 v89, v69, v11
	v_add_f16_e32 v90, v70, v68
	v_sub_f16_e32 v91, v69, v11
	v_sub_f16_e32 v92, v70, v68
	v_sub_f16_e32 v69, v71, v69
	v_sub_f16_e32 v70, v72, v70
	;; [unrolled: 6-line block ×3, first 2 shown]
	v_add_f16_e32 v97, v36, v78
	v_add_f16_e32 v98, v81, v79
	v_sub_f16_e32 v10, v115, v10
	v_add_f16_e32 v65, v65, v67
	v_add_f16_e32 v66, v66, v82
	v_sub_f16_e32 v8, v55, v8
	v_sub_f16_e32 v9, v57, v9
	v_sub_f16_e32 v11, v11, v71
	v_sub_f16_e32 v68, v68, v72
	v_sub_f16_e32 v6, v4, v6
	v_sub_f16_e32 v7, v32, v7
	v_sub_f16_e32 v102, v36, v78
	v_sub_f16_e32 v103, v81, v79
	v_sub_f16_e32 v78, v78, v64
	v_sub_f16_e32 v79, v79, v76
	v_sub_f16_e32 v36, v64, v36
	v_sub_f16_e32 v81, v76, v81
	v_add_f16_e32 v104, v1, v0
	v_add_f16_e32 v105, v2, v3
	v_sub_f16_e32 v106, v1, v0
	v_sub_f16_e32 v107, v2, v3
	v_add_f16_e32 v55, v85, v55
	v_add_f16_e32 v57, v86, v57
	v_mul_f16_e32 v37, 0x3a52, v37
	v_mul_f16_e32 v56, 0x3a52, v56
	;; [unrolled: 1-line block ×8, first 2 shown]
	v_add_f16_e32 v71, v71, v89
	v_add_f16_e32 v72, v72, v90
	;; [unrolled: 1-line block ×4, first 2 shown]
	v_mul_f16_e32 v89, 0x2b26, v69
	v_mul_f16_e32 v90, 0x2b26, v70
	;; [unrolled: 1-line block ×6, first 2 shown]
	v_add_f16_e32 v64, v64, v97
	v_add_f16_e32 v76, v76, v98
	v_sub_f16_e32 v0, v0, v33
	v_sub_f16_e32 v3, v3, v10
	v_add_f16_e32 v59, v65, v59
	v_add_f16_e32 v99, v66, v99
	v_sub_f16_e32 v1, v33, v1
	v_sub_f16_e32 v2, v10, v2
	v_mul_f16_e32 v11, 0x3a52, v11
	v_mul_f16_e32 v68, 0x3a52, v68
	v_add_f16_e32 v33, v104, v33
	v_add_f16_e32 v10, v105, v10
	v_mul_f16_e32 v97, 0x2b26, v36
	v_mul_f16_e32 v98, 0x2b26, v81
	;; [unrolled: 1-line block ×4, first 2 shown]
	v_fmamk_f16 v58, v58, 0x2b26, v37
	v_fmamk_f16 v60, v60, 0x2b26, v56
	v_fma_f16 v67, v83, 0x39e0, -v67
	v_fma_f16 v82, v84, 0x39e0, -v82
	;; [unrolled: 1-line block ×4, first 2 shown]
	v_fmamk_f16 v83, v8, 0x3574, v85
	v_fmamk_f16 v84, v9, 0x3574, v86
	v_fma_f16 v34, v34, 0x3b00, -v85
	v_fma_f16 v63, v63, 0x3b00, -v86
	;; [unrolled: 1-line block ×4, first 2 shown]
	v_add_f16_e32 v77, v71, v77
	v_add_f16_e32 v85, v72, v100
	v_fma_f16 v86, v91, 0x39e0, -v89
	v_fma_f16 v87, v92, 0x39e0, -v90
	v_fmamk_f16 v88, v6, 0x3574, v93
	v_fmamk_f16 v89, v7, 0x3574, v94
	v_fma_f16 v5, v5, 0x3b00, -v93
	v_fma_f16 v35, v35, 0x3b00, -v94
	;; [unrolled: 1-line block ×4, first 2 shown]
	v_add_f16_e32 v80, v64, v80
	v_add_f16_e32 v90, v76, v101
	v_mul_f16_e32 v78, 0x3a52, v78
	v_mul_f16_e32 v79, 0x3a52, v79
	;; [unrolled: 1-line block ×4, first 2 shown]
	v_fmamk_f16 v65, v65, 0xbcab, v59
	v_fmamk_f16 v66, v66, 0xbcab, v99
	;; [unrolled: 1-line block ×4, first 2 shown]
	v_fma_f16 v11, v91, 0xb9e0, -v11
	v_fma_f16 v68, v92, 0xb9e0, -v68
	;; [unrolled: 1-line block ×6, first 2 shown]
	v_fmac_f16_e32 v83, 0x370e, v55
	v_fmac_f16_e32 v84, 0x370e, v57
	;; [unrolled: 1-line block ×6, first 2 shown]
	v_fmamk_f16 v55, v71, 0xbcab, v77
	v_fmamk_f16 v57, v72, 0xbcab, v85
	v_fmac_f16_e32 v88, 0x370e, v4
	v_fmac_f16_e32 v89, 0x370e, v32
	;; [unrolled: 1-line block ×6, first 2 shown]
	v_fmamk_f16 v4, v64, 0xbcab, v80
	v_fmamk_f16 v32, v76, 0xbcab, v90
	;; [unrolled: 1-line block ×4, first 2 shown]
	v_fma_f16 v78, v102, 0xb9e0, -v78
	v_fma_f16 v79, v103, 0xb9e0, -v79
	v_fmamk_f16 v93, v1, 0x3574, v104
	v_fmamk_f16 v94, v2, 0x3574, v105
	v_fma_f16 v1, v1, 0xb574, -v106
	v_fma_f16 v2, v2, 0xb574, -v107
	v_add_f16_e32 v58, v58, v65
	v_add_f16_e32 v60, v60, v66
	;; [unrolled: 1-line block ×6, first 2 shown]
	v_fmac_f16_e32 v0, 0x370e, v33
	v_fmac_f16_e32 v3, 0x370e, v10
	v_add_f16_e32 v65, v69, v55
	v_add_f16_e32 v66, v70, v57
	;; [unrolled: 1-line block ×7, first 2 shown]
	v_fmac_f16_e32 v93, 0x370e, v33
	v_fmac_f16_e32 v94, 0x370e, v10
	;; [unrolled: 1-line block ×4, first 2 shown]
	v_add_f16_e32 v70, v87, v57
	v_add_f16_e32 v36, v36, v4
	;; [unrolled: 1-line block ×6, first 2 shown]
	v_sub_f16_e32 v76, v60, v83
	v_pack_b32_f16 v10, v59, v99
	v_pack_b32_f16 v33, v77, v85
	;; [unrolled: 1-line block ×3, first 2 shown]
	v_add_f16_e32 v77, v9, v37
	v_sub_f16_e32 v78, v56, v8
	v_sub_f16_e32 v79, v64, v63
	v_add_f16_e32 v80, v34, v67
	v_add_f16_e32 v63, v63, v64
	v_sub_f16_e32 v34, v67, v34
	v_sub_f16_e32 v9, v37, v9
	v_add_f16_e32 v8, v8, v56
	v_sub_f16_e32 v37, v58, v84
	v_add_f16_e32 v56, v83, v60
	v_add_f16_e32 v58, v89, v65
	v_sub_f16_e32 v60, v66, v88
	v_sub_f16_e32 v83, v68, v3
	v_add_f16_e32 v84, v0, v71
	v_add_f16_e32 v3, v3, v68
	v_sub_f16_e32 v0, v71, v0
	v_add_f16_e32 v64, v7, v11
	v_sub_f16_e32 v67, v55, v6
	v_sub_f16_e32 v81, v69, v35
	v_add_f16_e32 v82, v5, v70
	v_add_f16_e32 v35, v35, v69
	v_sub_f16_e32 v5, v70, v5
	v_sub_f16_e32 v7, v11, v7
	v_add_f16_e32 v6, v6, v55
	v_sub_f16_e32 v11, v65, v89
	v_add_f16_e32 v55, v88, v66
	v_add_f16_e32 v65, v94, v36
	v_sub_f16_e32 v66, v57, v93
	v_add_f16_e32 v69, v2, v4
	v_sub_f16_e32 v70, v32, v1
	v_sub_f16_e32 v2, v4, v2
	v_add_f16_e32 v1, v1, v32
	v_sub_f16_e32 v4, v36, v94
	v_add_f16_e32 v32, v93, v57
	v_pack_b32_f16 v36, v72, v76
	v_pack_b32_f16 v57, v77, v78
	;; [unrolled: 1-line block ×18, first 2 shown]
	ds_store_2addr_b32 v30, v10, v36 offset1:24
	ds_store_2addr_b32 v30, v57, v68 offset0:48 offset1:72
	ds_store_2addr_b32 v30, v34, v8 offset0:96 offset1:120
	ds_store_b32 v30, v9 offset:576
	ds_store_2addr_b32 v74, v33, v37 offset1:24
	ds_store_2addr_b32 v74, v56, v58 offset0:48 offset1:72
	ds_store_2addr_b32 v74, v5, v6 offset0:96 offset1:120
	ds_store_b32 v74, v7 offset:576
	ds_store_2addr_b32 v75, v59, v11 offset1:24
	ds_store_2addr_b32 v75, v35, v55 offset0:48 offset1:72
	ds_store_2addr_b32 v75, v0, v1 offset0:96 offset1:120
	ds_store_b32 v75, v2 offset:576
	v_add_co_u32 v0, s1, s8, v61
	global_wb scope:SCOPE_SE
	s_wait_dscnt 0x0
	s_barrier_signal -1
	s_barrier_wait -1
	global_inv scope:SCOPE_SE
	s_clause 0x2
	global_load_b128 v[4:7], v73, s[8:9] offset:664
	global_load_b64 v[36:37], v73, s[8:9] offset:680
	global_load_b128 v[8:11], v[53:54], off offset:664
	s_wait_alu 0xf1ff
	v_add_co_ci_u32_e64 v1, s1, s9, v62, s1
	s_clause 0x2
	global_load_b64 v[53:54], v[53:54], off offset:680
	global_load_b128 v[32:35], v[0:1], off offset:664
	global_load_b64 v[55:56], v[0:1], off offset:680
	ds_load_2addr_b32 v[0:1], v23 offset1:224
	ds_load_2addr_b32 v[57:58], v50 offset0:72 offset1:128
	ds_load_2addr_b32 v[59:60], v50 offset0:184 offset1:240
	ds_load_b32 v3, v47
	ds_load_2addr_b32 v[61:62], v52 offset0:24 offset1:136
	ds_load_2addr_b32 v[49:50], v49 offset0:64 offset1:176
	;; [unrolled: 1-line block ×4, first 2 shown]
	ds_load_b32 v2, v46
	ds_load_b32 v30, v39
	ds_load_2addr_b32 v[67:68], v48 offset0:104 offset1:160
	ds_load_b32 v48, v42
	ds_load_b32 v51, v45
	global_wb scope:SCOPE_SE
	s_wait_loadcnt_dscnt 0x0
	s_barrier_signal -1
	s_barrier_wait -1
	global_inv scope:SCOPE_SE
	v_lshrrev_b32_e32 v73, 16, v1
	v_lshrrev_b32_e32 v70, 16, v57
	;; [unrolled: 1-line block ×39, first 2 shown]
	v_mul_f16_e32 v108, v90, v86
	v_mul_f16_e32 v90, v90, v51
	;; [unrolled: 1-line block ×20, first 2 shown]
	v_fma_f16 v51, v4, v51, -v108
	v_mul_f16_e32 v108, v77, v100
	v_mul_f16_e32 v100, v58, v100
	v_fmac_f16_e32 v90, v4, v86
	v_mul_f16_e32 v4, v78, v101
	v_mul_f16_e32 v86, v65, v101
	v_fma_f16 v48, v5, v48, -v109
	v_mul_f16_e32 v101, v80, v102
	v_mul_f16_e32 v102, v61, v102
	v_fmac_f16_e32 v91, v5, v87
	v_mul_f16_e32 v5, v81, v103
	v_mul_f16_e32 v87, v49, v103
	;; [unrolled: 6-line block ×3, first 2 shown]
	v_fmac_f16_e32 v93, v7, v89
	v_mul_f16_e32 v89, v84, v106
	v_mul_f16_e32 v105, v59, v106
	v_fma_f16 v7, v7, v68, -v111
	v_mul_f16_e32 v68, v85, v107
	v_mul_f16_e32 v106, v66, v107
	v_fma_f16 v57, v57, v36, -v112
	v_fmac_f16_e32 v94, v70, v36
	v_fma_f16 v36, v60, v37, -v113
	v_fmac_f16_e32 v95, v71, v37
	;; [unrolled: 2-line block ×14, first 2 shown]
	v_add_f16_e32 v35, v51, v36
	v_add_f16_e32 v49, v90, v95
	v_sub_f16_e32 v36, v51, v36
	v_add_f16_e32 v51, v48, v57
	v_add_f16_e32 v53, v91, v94
	v_sub_f16_e32 v50, v90, v95
	v_sub_f16_e32 v48, v48, v57
	;; [unrolled: 1-line block ×3, first 2 shown]
	v_add_f16_e32 v55, v30, v7
	v_add_f16_e32 v56, v92, v93
	v_sub_f16_e32 v7, v7, v30
	v_sub_f16_e32 v30, v93, v92
	v_add_f16_e32 v57, v1, v4
	v_add_f16_e32 v58, v96, v86
	v_sub_f16_e32 v1, v1, v4
	v_sub_f16_e32 v4, v96, v86
	;; [unrolled: 4-line block ×6, first 2 shown]
	v_add_f16_e32 v67, v32, v6
	v_sub_f16_e32 v6, v6, v32
	v_sub_f16_e32 v32, v88, v104
	v_add_f16_e32 v70, v51, v35
	v_add_f16_e32 v71, v53, v49
	;; [unrolled: 1-line block ×3, first 2 shown]
	v_sub_f16_e32 v73, v51, v35
	v_sub_f16_e32 v74, v53, v49
	;; [unrolled: 1-line block ×6, first 2 shown]
	v_add_f16_e32 v75, v7, v48
	v_add_f16_e32 v76, v30, v54
	v_sub_f16_e32 v77, v7, v48
	v_sub_f16_e32 v78, v30, v54
	;; [unrolled: 1-line block ×4, first 2 shown]
	v_add_f16_e32 v80, v59, v57
	v_add_f16_e32 v81, v60, v58
	v_sub_f16_e32 v82, v59, v57
	v_sub_f16_e32 v83, v60, v58
	;; [unrolled: 1-line block ×6, first 2 shown]
	v_add_f16_e32 v84, v9, v8
	v_add_f16_e32 v85, v10, v11
	v_sub_f16_e32 v86, v9, v8
	v_sub_f16_e32 v87, v10, v11
	;; [unrolled: 1-line block ×4, first 2 shown]
	v_add_f16_e32 v88, v65, v63
	v_add_f16_e32 v89, v66, v64
	;; [unrolled: 1-line block ×4, first 2 shown]
	v_sub_f16_e32 v94, v6, v5
	v_sub_f16_e32 v95, v32, v33
	;; [unrolled: 1-line block ×4, first 2 shown]
	v_add_f16_e32 v55, v55, v70
	v_add_f16_e32 v56, v56, v71
	v_sub_f16_e32 v7, v36, v7
	v_sub_f16_e32 v30, v50, v30
	;; [unrolled: 1-line block ×12, first 2 shown]
	v_add_f16_e32 v36, v75, v36
	v_add_f16_e32 v50, v76, v50
	v_mul_f16_e32 v35, 0x3a52, v35
	v_mul_f16_e32 v49, 0x3a52, v49
	;; [unrolled: 1-line block ×8, first 2 shown]
	v_add_f16_e32 v61, v61, v80
	v_add_f16_e32 v62, v62, v81
	;; [unrolled: 1-line block ×4, first 2 shown]
	v_mul_f16_e32 v57, 0x3a52, v57
	v_mul_f16_e32 v58, 0x3a52, v58
	;; [unrolled: 1-line block ×8, first 2 shown]
	v_add_f16_e32 v67, v67, v88
	v_add_f16_e32 v68, v68, v89
	;; [unrolled: 1-line block ×4, first 2 shown]
	v_mul_f16_e32 v92, 0xb846, v94
	v_mul_f16_e32 v93, 0xb846, v95
	;; [unrolled: 1-line block ×4, first 2 shown]
	v_add_f16_e32 v0, v0, v55
	v_add_f16_e32 v69, v69, v56
	v_mul_f16_e32 v63, 0x3a52, v63
	v_mul_f16_e32 v64, 0x3a52, v64
	;; [unrolled: 1-line block ×4, first 2 shown]
	v_fmamk_f16 v51, v51, 0x2b26, v35
	v_fmamk_f16 v53, v53, 0x2b26, v49
	v_fma_f16 v70, v73, 0x39e0, -v70
	v_fma_f16 v71, v74, 0x39e0, -v71
	;; [unrolled: 1-line block ×4, first 2 shown]
	v_fmamk_f16 v73, v7, 0x3574, v75
	v_fmamk_f16 v74, v30, 0x3574, v76
	v_fma_f16 v48, v48, 0x3b00, -v75
	v_fma_f16 v54, v54, 0x3b00, -v76
	;; [unrolled: 1-line block ×4, first 2 shown]
	v_add_f16_e32 v3, v3, v61
	v_add_f16_e32 v72, v72, v62
	v_fmamk_f16 v59, v59, 0x2b26, v57
	v_fmamk_f16 v60, v60, 0x2b26, v58
	v_fma_f16 v75, v82, 0x39e0, -v80
	v_fma_f16 v76, v83, 0x39e0, -v81
	;; [unrolled: 1-line block ×4, first 2 shown]
	v_fmamk_f16 v77, v9, 0x3574, v84
	v_fmamk_f16 v78, v10, 0x3574, v85
	v_fma_f16 v8, v8, 0x3b00, -v84
	v_fma_f16 v11, v11, 0x3b00, -v85
	;; [unrolled: 1-line block ×4, first 2 shown]
	v_add_f16_e32 v2, v2, v67
	v_add_f16_e32 v79, v79, v68
	v_fmamk_f16 v82, v6, 0x3574, v92
	v_fmamk_f16 v83, v32, 0x3574, v93
	v_fma_f16 v5, v5, 0x3b00, -v92
	v_fma_f16 v33, v33, 0x3b00, -v93
	;; [unrolled: 1-line block ×4, first 2 shown]
	v_fmamk_f16 v55, v55, 0xbcab, v0
	v_fmamk_f16 v56, v56, 0xbcab, v69
	v_fmamk_f16 v65, v65, 0x2b26, v63
	v_fmamk_f16 v66, v66, 0x2b26, v64
	v_fma_f16 v80, v90, 0x39e0, -v88
	v_fma_f16 v81, v91, 0x39e0, -v89
	;; [unrolled: 1-line block ×4, first 2 shown]
	v_fmac_f16_e32 v73, 0x370e, v36
	v_fmac_f16_e32 v74, 0x370e, v50
	;; [unrolled: 1-line block ×6, first 2 shown]
	v_fmamk_f16 v36, v61, 0xbcab, v3
	v_fmamk_f16 v50, v62, 0xbcab, v72
	v_fmac_f16_e32 v77, 0x370e, v1
	v_fmac_f16_e32 v78, 0x370e, v4
	;; [unrolled: 1-line block ×6, first 2 shown]
	v_fmamk_f16 v1, v67, 0xbcab, v2
	v_fmamk_f16 v4, v68, 0xbcab, v79
	v_fmac_f16_e32 v82, 0x370e, v34
	v_fmac_f16_e32 v83, 0x370e, v37
	v_fmac_f16_e32 v5, 0x370e, v34
	v_fmac_f16_e32 v33, 0x370e, v37
	v_fmac_f16_e32 v6, 0x370e, v34
	v_fmac_f16_e32 v32, 0x370e, v37
	v_add_f16_e32 v34, v51, v55
	v_add_f16_e32 v37, v53, v56
	;; [unrolled: 1-line block ×19, first 2 shown]
	v_sub_f16_e32 v64, v37, v73
	v_add_f16_e32 v65, v30, v35
	v_sub_f16_e32 v66, v49, v7
	v_sub_f16_e32 v67, v51, v54
	v_add_f16_e32 v68, v48, v53
	v_pack_b32_f16 v0, v0, v69
	v_add_f16_e32 v51, v54, v51
	v_sub_f16_e32 v48, v53, v48
	v_sub_f16_e32 v30, v35, v30
	v_add_f16_e32 v7, v7, v49
	v_sub_f16_e32 v69, v59, v11
	v_add_f16_e32 v11, v11, v59
	v_add_f16_e32 v59, v32, v1
	v_sub_f16_e32 v1, v1, v32
	v_pack_b32_f16 v32, v63, v64
	v_sub_f16_e32 v34, v34, v74
	v_add_f16_e32 v35, v73, v37
	v_sub_f16_e32 v71, v61, v33
	v_add_f16_e32 v73, v5, v62
	v_add_f16_e32 v33, v33, v61
	v_sub_f16_e32 v5, v62, v5
	v_pack_b32_f16 v61, v65, v66
	v_pack_b32_f16 v62, v67, v68
	v_add_f16_e32 v37, v78, v55
	v_sub_f16_e32 v49, v56, v77
	v_add_f16_e32 v53, v10, v36
	v_sub_f16_e32 v54, v50, v9
	;; [unrolled: 2-line block ×3, first 2 shown]
	v_sub_f16_e32 v10, v36, v10
	v_add_f16_e32 v9, v9, v50
	v_sub_f16_e32 v36, v55, v78
	v_add_f16_e32 v50, v77, v56
	ds_store_2addr_b32 v23, v0, v32 offset1:168
	ds_store_2addr_b32 v52, v61, v62 offset0:80 offset1:248
	v_pack_b32_f16 v0, v51, v48
	v_pack_b32_f16 v7, v30, v7
	v_add_f16_e32 v55, v83, v57
	v_sub_f16_e32 v56, v58, v82
	v_pack_b32_f16 v30, v34, v35
	v_sub_f16_e32 v60, v4, v6
	v_pack_b32_f16 v3, v3, v72
	v_pack_b32_f16 v32, v37, v49
	v_add_f16_e32 v4, v6, v4
	v_pack_b32_f16 v34, v53, v54
	v_pack_b32_f16 v35, v69, v70
	v_add_nc_u32_e32 v37, 0x400, v47
	v_sub_f16_e32 v6, v57, v83
	v_add_f16_e32 v57, v82, v58
	v_pack_b32_f16 v8, v11, v8
	v_pack_b32_f16 v9, v10, v9
	v_add_nc_u32_e32 v10, 0xa00, v47
	ds_store_2addr_b32 v19, v0, v7 offset0:32 offset1:200
	ds_store_b32 v23, v30 offset:4032
	ds_store_2addr_b32 v47, v3, v32 offset1:168
	ds_store_2addr_b32 v37, v34, v35 offset0:80 offset1:248
	ds_store_2addr_b32 v10, v8, v9 offset0:32 offset1:200
	v_pack_b32_f16 v0, v36, v50
	v_pack_b32_f16 v2, v2, v79
	;; [unrolled: 1-line block ×5, first 2 shown]
	v_add_nc_u32_e32 v9, 0x400, v46
	v_pack_b32_f16 v5, v33, v5
	v_pack_b32_f16 v1, v1, v4
	v_add_nc_u32_e32 v4, 0xa00, v46
	v_pack_b32_f16 v6, v6, v57
	ds_store_b32 v47, v0 offset:4032
	ds_store_2addr_b32 v46, v2, v3 offset1:168
	ds_store_2addr_b32 v9, v7, v8 offset0:80 offset1:248
	ds_store_2addr_b32 v4, v5, v1 offset0:32 offset1:200
	ds_store_b32 v46, v6 offset:4032
	global_wb scope:SCOPE_SE
	s_wait_dscnt 0x0
	s_barrier_signal -1
	s_barrier_wait -1
	global_inv scope:SCOPE_SE
	ds_load_b32 v4, v23
	v_sub_nc_u32_e32 v0, 0, v15
                                        ; implicit-def: $vgpr3
                                        ; implicit-def: $vgpr2
                                        ; implicit-def: $vgpr1
	s_wait_dscnt 0x0
	v_lshrrev_b32_e32 v5, 16, v4
	v_cmpx_ne_u32_e32 0, v14
	s_wait_alu 0xfffe
	s_xor_b32 s4, exec_lo, s4
	s_cbranch_execz .LBB0_25
; %bb.24:
	v_mov_b32_e32 v15, v31
	s_delay_alu instid0(VALU_DEP_1) | instskip(NEXT) | instid1(VALU_DEP_1)
	v_lshlrev_b64_e32 v[1:2], 2, v[14:15]
	v_add_co_u32 v1, s1, s8, v1
	s_wait_alu 0xf1ff
	s_delay_alu instid0(VALU_DEP_2)
	v_add_co_ci_u32_e64 v2, s1, s9, v2, s1
	global_load_b32 v3, v[1:2], off offset:4696
	ds_load_b32 v1, v0 offset:4704
	s_wait_dscnt 0x0
	v_lshrrev_b32_e32 v2, 16, v1
	v_sub_f16_e32 v6, v4, v1
	v_add_f16_e32 v1, v1, v4
	s_delay_alu instid0(VALU_DEP_3) | instskip(SKIP_1) | instid1(VALU_DEP_4)
	v_add_f16_e32 v7, v2, v5
	v_sub_f16_e32 v2, v5, v2
	v_mul_f16_e32 v5, 0.5, v6
	s_delay_alu instid0(VALU_DEP_3) | instskip(NEXT) | instid1(VALU_DEP_3)
	v_mul_f16_e32 v4, 0.5, v7
	v_mul_f16_e32 v2, 0.5, v2
	s_wait_loadcnt 0x0
	v_lshrrev_b32_e32 v6, 16, v3
	s_delay_alu instid0(VALU_DEP_1) | instskip(NEXT) | instid1(VALU_DEP_3)
	v_mul_f16_e32 v7, v6, v5
	v_fma_f16 v8, v4, v6, v2
	v_fma_f16 v6, v4, v6, -v2
	s_delay_alu instid0(VALU_DEP_3) | instskip(SKIP_1) | instid1(VALU_DEP_4)
	v_fma_f16 v9, 0.5, v1, v7
	v_fma_f16 v7, v1, 0.5, -v7
	v_fma_f16 v1, -v3, v5, v8
	s_delay_alu instid0(VALU_DEP_3) | instskip(NEXT) | instid1(VALU_DEP_3)
	v_fmac_f16_e32 v9, v3, v4
	v_fma_f16 v2, -v3, v4, v7
	v_fma_f16 v3, -v3, v5, v6
                                        ; implicit-def: $vgpr5
                                        ; implicit-def: $vgpr4
	ds_store_b16 v23, v9
.LBB0_25:
	s_wait_alu 0xfffe
	s_and_not1_saveexec_b32 s1, s4
	s_cbranch_execz .LBB0_27
; %bb.26:
	v_mov_b32_e32 v1, 0
	v_add_f16_e32 v6, v5, v4
	v_sub_f16_e32 v2, v4, v5
	ds_load_u16 v3, v1 offset:2354
	s_wait_dscnt 0x0
	v_xor_b32_e32 v4, 0x8000, v3
	v_mov_b32_e32 v3, 0
	ds_store_b16 v23, v6
	ds_store_b16 v1, v4 offset:2354
.LBB0_27:
	s_wait_alu 0xfffe
	s_or_b32 exec_lo, exec_lo, s1
	v_mov_b32_e32 v19, 0
	v_perm_b32 v3, v3, v2, 0x5040100
	ds_store_b16 v23, v1 offset:2
	v_lshlrev_b64_e32 v[4:5], 2, v[18:19]
	v_mov_b32_e32 v30, v19
	ds_store_b32 v0, v3 offset:4704
	v_mov_b32_e32 v23, v19
	v_add_co_u32 v4, s1, s8, v4
	s_wait_alu 0xf1ff
	v_add_co_ci_u32_e64 v5, s1, s9, v5, s1
	global_load_b32 v6, v[4:5], off offset:4696
	v_lshlrev_b64_e32 v[4:5], 2, v[29:30]
	v_mov_b32_e32 v29, v19
	s_delay_alu instid0(VALU_DEP_2) | instskip(SKIP_1) | instid1(VALU_DEP_3)
	v_add_co_u32 v4, s1, s8, v4
	s_wait_alu 0xf1ff
	v_add_co_ci_u32_e64 v5, s1, s9, v5, s1
	global_load_b32 v7, v[4:5], off offset:4696
	v_lshlrev_b64_e32 v[4:5], 2, v[28:29]
	v_mov_b32_e32 v28, v19
	s_delay_alu instid0(VALU_DEP_2) | instskip(SKIP_1) | instid1(VALU_DEP_3)
	;; [unrolled: 7-line block ×4, first 2 shown]
	v_add_co_u32 v4, s1, s8, v4
	s_wait_alu 0xf1ff
	v_add_co_ci_u32_e64 v5, s1, s9, v5, s1
	s_delay_alu instid0(VALU_DEP_3)
	v_lshlrev_b64_e32 v[1:2], 2, v[25:26]
	v_mov_b32_e32 v25, v19
	global_load_b32 v5, v[4:5], off offset:4696
	ds_load_b32 v10, v47
	ds_load_b32 v11, v0 offset:4480
	v_add_co_u32 v1, s1, s8, v1
	s_wait_alu 0xf1ff
	v_add_co_ci_u32_e64 v2, s1, s9, v2, s1
	global_load_b32 v15, v[1:2], off offset:4696
	v_lshlrev_b64_e32 v[1:2], 2, v[22:23]
	v_mov_b32_e32 v22, v19
	v_lshlrev_b64_e32 v[3:4], 2, v[24:25]
	s_delay_alu instid0(VALU_DEP_3) | instskip(SKIP_1) | instid1(VALU_DEP_4)
	v_add_co_u32 v1, s1, s8, v1
	s_wait_alu 0xf1ff
	v_add_co_ci_u32_e64 v2, s1, s9, v2, s1
	s_wait_dscnt 0x0
	v_pk_add_f16 v18, v10, v11 neg_lo:[0,1] neg_hi:[0,1]
	v_pk_add_f16 v10, v10, v11
	v_add_co_u32 v3, s1, s8, v3
	s_wait_alu 0xf1ff
	v_add_co_ci_u32_e64 v4, s1, s9, v4, s1
	s_delay_alu instid0(VALU_DEP_3)
	v_bfi_b32 v11, 0xffff, v18, v10
	v_bfi_b32 v10, 0xffff, v10, v18
	s_clause 0x1
	global_load_b32 v18, v[1:2], off offset:4696
	global_load_b32 v3, v[3:4], off offset:4696
	v_pk_mul_f16 v11, v11, 0.5 op_sel_hi:[1,0]
	v_pk_mul_f16 v10, v10, 0.5 op_sel_hi:[1,0]
	s_wait_loadcnt 0x7
	s_delay_alu instid0(VALU_DEP_1) | instskip(SKIP_3) | instid1(VALU_DEP_3)
	v_pk_fma_f16 v1, v6, v11, v10 op_sel:[1,0,0]
	v_pk_mul_f16 v2, v6, v11 op_sel_hi:[0,1]
	v_pk_fma_f16 v4, v6, v11, v10 op_sel:[1,0,0] neg_lo:[1,0,0] neg_hi:[1,0,0]
	v_pk_fma_f16 v6, v6, v11, v10 op_sel:[1,0,0] neg_lo:[0,0,1] neg_hi:[0,0,1]
	v_pk_add_f16 v10, v1, v2 op_sel:[0,1] op_sel_hi:[1,0]
	v_pk_add_f16 v1, v1, v2 op_sel:[0,1] op_sel_hi:[1,0] neg_lo:[0,1] neg_hi:[0,1]
	s_delay_alu instid0(VALU_DEP_4) | instskip(NEXT) | instid1(VALU_DEP_4)
	v_pk_add_f16 v4, v4, v2 op_sel:[0,1] op_sel_hi:[1,0] neg_lo:[0,1] neg_hi:[0,1]
	v_pk_add_f16 v2, v6, v2 op_sel:[0,1] op_sel_hi:[1,0] neg_lo:[0,1] neg_hi:[0,1]
	s_delay_alu instid0(VALU_DEP_3) | instskip(NEXT) | instid1(VALU_DEP_2)
	v_bfi_b32 v1, 0xffff, v10, v1
	v_bfi_b32 v2, 0xffff, v4, v2
	ds_store_b32 v47, v1
	ds_store_b32 v0, v2 offset:4480
	ds_load_b32 v1, v46
	ds_load_b32 v2, v0 offset:4256
	s_wait_dscnt 0x0
	v_pk_add_f16 v4, v1, v2 neg_lo:[0,1] neg_hi:[0,1]
	v_pk_add_f16 v1, v1, v2
	s_delay_alu instid0(VALU_DEP_1) | instskip(SKIP_1) | instid1(VALU_DEP_2)
	v_bfi_b32 v2, 0xffff, v4, v1
	v_bfi_b32 v1, 0xffff, v1, v4
	v_pk_mul_f16 v2, v2, 0.5 op_sel_hi:[1,0]
	s_delay_alu instid0(VALU_DEP_2) | instskip(SKIP_1) | instid1(VALU_DEP_2)
	v_pk_mul_f16 v1, v1, 0.5 op_sel_hi:[1,0]
	s_wait_loadcnt 0x6
	v_pk_mul_f16 v6, v7, v2 op_sel_hi:[0,1]
	s_delay_alu instid0(VALU_DEP_2) | instskip(SKIP_2) | instid1(VALU_DEP_3)
	v_pk_fma_f16 v4, v7, v2, v1 op_sel:[1,0,0]
	v_pk_fma_f16 v10, v7, v2, v1 op_sel:[1,0,0] neg_lo:[1,0,0] neg_hi:[1,0,0]
	v_pk_fma_f16 v1, v7, v2, v1 op_sel:[1,0,0] neg_lo:[0,0,1] neg_hi:[0,0,1]
	v_pk_add_f16 v2, v4, v6 op_sel:[0,1] op_sel_hi:[1,0]
	v_pk_add_f16 v4, v4, v6 op_sel:[0,1] op_sel_hi:[1,0] neg_lo:[0,1] neg_hi:[0,1]
	s_delay_alu instid0(VALU_DEP_4) | instskip(NEXT) | instid1(VALU_DEP_4)
	v_pk_add_f16 v7, v10, v6 op_sel:[0,1] op_sel_hi:[1,0] neg_lo:[0,1] neg_hi:[0,1]
	v_pk_add_f16 v1, v1, v6 op_sel:[0,1] op_sel_hi:[1,0] neg_lo:[0,1] neg_hi:[0,1]
	s_delay_alu instid0(VALU_DEP_3) | instskip(NEXT) | instid1(VALU_DEP_2)
	v_bfi_b32 v2, 0xffff, v2, v4
	v_bfi_b32 v1, 0xffff, v7, v1
	ds_store_b32 v46, v2
	ds_store_b32 v0, v1 offset:4256
	ds_load_b32 v1, v45
	ds_load_b32 v2, v0 offset:4032
	s_wait_dscnt 0x0
	v_pk_add_f16 v4, v1, v2 neg_lo:[0,1] neg_hi:[0,1]
	v_pk_add_f16 v1, v1, v2
	s_delay_alu instid0(VALU_DEP_1) | instskip(SKIP_1) | instid1(VALU_DEP_2)
	v_bfi_b32 v2, 0xffff, v4, v1
	v_bfi_b32 v1, 0xffff, v1, v4
	v_pk_mul_f16 v2, v2, 0.5 op_sel_hi:[1,0]
	s_delay_alu instid0(VALU_DEP_2) | instskip(SKIP_1) | instid1(VALU_DEP_2)
	v_pk_mul_f16 v1, v1, 0.5 op_sel_hi:[1,0]
	s_wait_loadcnt 0x5
	v_pk_mul_f16 v6, v8, v2 op_sel_hi:[0,1]
	s_delay_alu instid0(VALU_DEP_2) | instskip(SKIP_2) | instid1(VALU_DEP_3)
	v_pk_fma_f16 v4, v8, v2, v1 op_sel:[1,0,0]
	v_pk_fma_f16 v7, v8, v2, v1 op_sel:[1,0,0] neg_lo:[1,0,0] neg_hi:[1,0,0]
	v_pk_fma_f16 v1, v8, v2, v1 op_sel:[1,0,0] neg_lo:[0,0,1] neg_hi:[0,0,1]
	v_pk_add_f16 v2, v4, v6 op_sel:[0,1] op_sel_hi:[1,0]
	v_pk_add_f16 v4, v4, v6 op_sel:[0,1] op_sel_hi:[1,0] neg_lo:[0,1] neg_hi:[0,1]
	s_delay_alu instid0(VALU_DEP_4) | instskip(NEXT) | instid1(VALU_DEP_4)
	v_pk_add_f16 v7, v7, v6 op_sel:[0,1] op_sel_hi:[1,0] neg_lo:[0,1] neg_hi:[0,1]
	v_pk_add_f16 v1, v1, v6 op_sel:[0,1] op_sel_hi:[1,0] neg_lo:[0,1] neg_hi:[0,1]
	s_delay_alu instid0(VALU_DEP_3) | instskip(NEXT) | instid1(VALU_DEP_2)
	v_bfi_b32 v4, 0xffff, v2, v4
	v_bfi_b32 v6, 0xffff, v7, v1
	v_lshlrev_b64_e32 v[1:2], 2, v[21:22]
	ds_store_b32 v45, v4
	ds_store_b32 v0, v6 offset:4032
	ds_load_b32 v4, v44
	ds_load_b32 v6, v0 offset:3808
	v_add_co_u32 v1, s1, s8, v1
	s_wait_alu 0xf1ff
	v_add_co_ci_u32_e64 v2, s1, s9, v2, s1
	global_load_b32 v1, v[1:2], off offset:4696
	s_wait_dscnt 0x0
	v_pk_add_f16 v2, v4, v6 neg_lo:[0,1] neg_hi:[0,1]
	v_pk_add_f16 v4, v4, v6
	s_delay_alu instid0(VALU_DEP_1) | instskip(SKIP_1) | instid1(VALU_DEP_2)
	v_bfi_b32 v6, 0xffff, v2, v4
	v_bfi_b32 v2, 0xffff, v4, v2
	v_pk_mul_f16 v4, v6, 0.5 op_sel_hi:[1,0]
	s_delay_alu instid0(VALU_DEP_2) | instskip(SKIP_1) | instid1(VALU_DEP_2)
	v_pk_mul_f16 v2, v2, 0.5 op_sel_hi:[1,0]
	s_wait_loadcnt 0x5
	v_pk_mul_f16 v7, v9, v4 op_sel_hi:[0,1]
	s_delay_alu instid0(VALU_DEP_2) | instskip(SKIP_2) | instid1(VALU_DEP_3)
	v_pk_fma_f16 v6, v9, v4, v2 op_sel:[1,0,0]
	v_pk_fma_f16 v8, v9, v4, v2 op_sel:[1,0,0] neg_lo:[1,0,0] neg_hi:[1,0,0]
	v_pk_fma_f16 v2, v9, v4, v2 op_sel:[1,0,0] neg_lo:[0,0,1] neg_hi:[0,0,1]
	v_pk_add_f16 v4, v6, v7 op_sel:[0,1] op_sel_hi:[1,0]
	v_pk_add_f16 v6, v6, v7 op_sel:[0,1] op_sel_hi:[1,0] neg_lo:[0,1] neg_hi:[0,1]
	s_delay_alu instid0(VALU_DEP_4) | instskip(NEXT) | instid1(VALU_DEP_4)
	v_pk_add_f16 v8, v8, v7 op_sel:[0,1] op_sel_hi:[1,0] neg_lo:[0,1] neg_hi:[0,1]
	v_pk_add_f16 v2, v2, v7 op_sel:[0,1] op_sel_hi:[1,0] neg_lo:[0,1] neg_hi:[0,1]
	s_delay_alu instid0(VALU_DEP_3) | instskip(NEXT) | instid1(VALU_DEP_2)
	v_bfi_b32 v4, 0xffff, v4, v6
	v_bfi_b32 v2, 0xffff, v8, v2
	ds_store_b32 v44, v4
	ds_store_b32 v0, v2 offset:3808
	ds_load_b32 v2, v43
	ds_load_b32 v4, v0 offset:3584
	s_wait_dscnt 0x0
	v_pk_add_f16 v6, v2, v4 neg_lo:[0,1] neg_hi:[0,1]
	v_pk_add_f16 v2, v2, v4
	s_delay_alu instid0(VALU_DEP_1) | instskip(SKIP_1) | instid1(VALU_DEP_2)
	v_bfi_b32 v4, 0xffff, v6, v2
	v_bfi_b32 v2, 0xffff, v2, v6
	v_pk_mul_f16 v4, v4, 0.5 op_sel_hi:[1,0]
	s_delay_alu instid0(VALU_DEP_2) | instskip(SKIP_1) | instid1(VALU_DEP_2)
	v_pk_mul_f16 v2, v2, 0.5 op_sel_hi:[1,0]
	s_wait_loadcnt 0x4
	v_pk_mul_f16 v7, v5, v4 op_sel_hi:[0,1]
	s_delay_alu instid0(VALU_DEP_2) | instskip(SKIP_2) | instid1(VALU_DEP_3)
	v_pk_fma_f16 v6, v5, v4, v2 op_sel:[1,0,0]
	v_pk_fma_f16 v8, v5, v4, v2 op_sel:[1,0,0] neg_lo:[1,0,0] neg_hi:[1,0,0]
	v_pk_fma_f16 v2, v5, v4, v2 op_sel:[1,0,0] neg_lo:[0,0,1] neg_hi:[0,0,1]
	v_pk_add_f16 v4, v6, v7 op_sel:[0,1] op_sel_hi:[1,0]
	v_pk_add_f16 v5, v6, v7 op_sel:[0,1] op_sel_hi:[1,0] neg_lo:[0,1] neg_hi:[0,1]
	s_delay_alu instid0(VALU_DEP_4) | instskip(NEXT) | instid1(VALU_DEP_4)
	v_pk_add_f16 v6, v8, v7 op_sel:[0,1] op_sel_hi:[1,0] neg_lo:[0,1] neg_hi:[0,1]
	v_pk_add_f16 v2, v2, v7 op_sel:[0,1] op_sel_hi:[1,0] neg_lo:[0,1] neg_hi:[0,1]
	s_delay_alu instid0(VALU_DEP_3) | instskip(NEXT) | instid1(VALU_DEP_2)
	v_bfi_b32 v4, 0xffff, v4, v5
	v_bfi_b32 v2, 0xffff, v6, v2
	ds_store_b32 v43, v4
	ds_store_b32 v0, v2 offset:3584
	ds_load_b32 v2, v42
	ds_load_b32 v4, v0 offset:3360
	;; [unrolled: 27-line block ×5, first 2 shown]
	s_wait_dscnt 0x0
	v_pk_add_f16 v4, v2, v3 neg_lo:[0,1] neg_hi:[0,1]
	v_pk_add_f16 v2, v2, v3
	s_delay_alu instid0(VALU_DEP_1) | instskip(SKIP_1) | instid1(VALU_DEP_2)
	v_bfi_b32 v3, 0xffff, v4, v2
	v_bfi_b32 v2, 0xffff, v2, v4
	v_pk_mul_f16 v3, v3, 0.5 op_sel_hi:[1,0]
	s_delay_alu instid0(VALU_DEP_2) | instskip(SKIP_1) | instid1(VALU_DEP_1)
	v_pk_mul_f16 v2, v2, 0.5 op_sel_hi:[1,0]
	s_wait_loadcnt 0x0
	v_pk_fma_f16 v4, v1, v3, v2 op_sel:[1,0,0]
	v_pk_mul_f16 v5, v1, v3 op_sel_hi:[0,1]
	v_pk_fma_f16 v6, v1, v3, v2 op_sel:[1,0,0] neg_lo:[1,0,0] neg_hi:[1,0,0]
	v_pk_fma_f16 v1, v1, v3, v2 op_sel:[1,0,0] neg_lo:[0,0,1] neg_hi:[0,0,1]
	s_delay_alu instid0(VALU_DEP_3) | instskip(SKIP_1) | instid1(VALU_DEP_4)
	v_pk_add_f16 v2, v4, v5 op_sel:[0,1] op_sel_hi:[1,0]
	v_pk_add_f16 v3, v4, v5 op_sel:[0,1] op_sel_hi:[1,0] neg_lo:[0,1] neg_hi:[0,1]
	v_pk_add_f16 v4, v6, v5 op_sel:[0,1] op_sel_hi:[1,0] neg_lo:[0,1] neg_hi:[0,1]
	s_delay_alu instid0(VALU_DEP_4) | instskip(NEXT) | instid1(VALU_DEP_3)
	v_pk_add_f16 v1, v1, v5 op_sel:[0,1] op_sel_hi:[1,0] neg_lo:[0,1] neg_hi:[0,1]
	v_bfi_b32 v2, 0xffff, v2, v3
	s_delay_alu instid0(VALU_DEP_2)
	v_bfi_b32 v1, 0xffff, v4, v1
	ds_store_b32 v39, v2
	ds_store_b32 v0, v1 offset:2688
	s_and_saveexec_b32 s1, s0
	s_cbranch_execz .LBB0_29
; %bb.28:
	v_mov_b32_e32 v21, v19
	s_delay_alu instid0(VALU_DEP_1) | instskip(NEXT) | instid1(VALU_DEP_1)
	v_lshlrev_b64_e32 v[1:2], 2, v[20:21]
	v_add_co_u32 v1, s0, s8, v1
	s_wait_alu 0xf1ff
	s_delay_alu instid0(VALU_DEP_2)
	v_add_co_ci_u32_e64 v2, s0, s9, v2, s0
	global_load_b32 v1, v[1:2], off offset:4696
	ds_load_b32 v2, v38
	ds_load_b32 v3, v0 offset:2464
	s_wait_dscnt 0x0
	v_pk_add_f16 v4, v2, v3 neg_lo:[0,1] neg_hi:[0,1]
	v_pk_add_f16 v2, v2, v3
	s_delay_alu instid0(VALU_DEP_1) | instskip(SKIP_1) | instid1(VALU_DEP_2)
	v_bfi_b32 v3, 0xffff, v4, v2
	v_bfi_b32 v2, 0xffff, v2, v4
	v_pk_mul_f16 v3, v3, 0.5 op_sel_hi:[1,0]
	s_delay_alu instid0(VALU_DEP_2) | instskip(SKIP_1) | instid1(VALU_DEP_1)
	v_pk_mul_f16 v2, v2, 0.5 op_sel_hi:[1,0]
	s_wait_loadcnt 0x0
	v_pk_fma_f16 v4, v1, v3, v2 op_sel:[1,0,0]
	v_pk_mul_f16 v5, v1, v3 op_sel_hi:[0,1]
	v_pk_fma_f16 v6, v1, v3, v2 op_sel:[1,0,0] neg_lo:[1,0,0] neg_hi:[1,0,0]
	v_pk_fma_f16 v1, v1, v3, v2 op_sel:[1,0,0] neg_lo:[0,0,1] neg_hi:[0,0,1]
	s_delay_alu instid0(VALU_DEP_3) | instskip(SKIP_1) | instid1(VALU_DEP_4)
	v_pk_add_f16 v2, v4, v5 op_sel:[0,1] op_sel_hi:[1,0]
	v_pk_add_f16 v3, v4, v5 op_sel:[0,1] op_sel_hi:[1,0] neg_lo:[0,1] neg_hi:[0,1]
	v_pk_add_f16 v4, v6, v5 op_sel:[0,1] op_sel_hi:[1,0] neg_lo:[0,1] neg_hi:[0,1]
	s_delay_alu instid0(VALU_DEP_4) | instskip(NEXT) | instid1(VALU_DEP_3)
	v_pk_add_f16 v1, v1, v5 op_sel:[0,1] op_sel_hi:[1,0] neg_lo:[0,1] neg_hi:[0,1]
	v_bfi_b32 v2, 0xffff, v2, v3
	s_delay_alu instid0(VALU_DEP_2)
	v_bfi_b32 v1, 0xffff, v4, v1
	ds_store_b32 v38, v2
	ds_store_b32 v0, v1 offset:2464
.LBB0_29:
	s_wait_alu 0xfffe
	s_or_b32 exec_lo, exec_lo, s1
	global_wb scope:SCOPE_SE
	s_wait_dscnt 0x0
	s_barrier_signal -1
	s_barrier_wait -1
	global_inv scope:SCOPE_SE
	s_and_saveexec_b32 s0, vcc_lo
	s_cbranch_execz .LBB0_32
; %bb.30:
	v_mul_lo_u32 v2, s3, v16
	v_mul_lo_u32 v3, s2, v17
	v_mad_co_u64_u32 v[0:1], null, s2, v16, 0
	v_dual_mov_b32 v15, 0 :: v_dual_add_nc_u32 v4, 56, v14
	v_add_nc_u32_e32 v6, 0x70, v14
	v_add_nc_u32_e32 v8, 0xa8, v14
	v_lshl_add_u32 v30, v14, 2, 0
	s_delay_alu instid0(VALU_DEP_4)
	v_mov_b32_e32 v7, v15
	v_add3_u32 v1, v1, v3, v2
	v_lshlrev_b64_e32 v[2:3], 2, v[12:13]
	v_mov_b32_e32 v5, v15
	v_lshlrev_b64_e32 v[12:13], 2, v[14:15]
	v_dual_mov_b32 v9, v15 :: v_dual_add_nc_u32 v16, 0xe0, v14
	v_lshlrev_b64_e32 v[0:1], 2, v[0:1]
	s_delay_alu instid0(VALU_DEP_4)
	v_lshlrev_b64_e32 v[4:5], 2, v[4:5]
	v_dual_mov_b32 v17, v15 :: v_dual_add_nc_u32 v18, 0x200, v30
	ds_load_2addr_b32 v[10:11], v30 offset1:56
	v_lshlrev_b64_e32 v[8:9], 2, v[8:9]
	v_add_co_u32 v0, vcc_lo, s6, v0
	s_wait_alu 0xfffd
	v_add_co_ci_u32_e32 v1, vcc_lo, s7, v1, vcc_lo
	v_dual_mov_b32 v21, v15 :: v_dual_add_nc_u32 v20, 0x118, v14
	s_delay_alu instid0(VALU_DEP_3) | instskip(SKIP_1) | instid1(VALU_DEP_3)
	v_add_co_u32 v0, vcc_lo, v0, v2
	s_wait_alu 0xfffd
	v_add_co_ci_u32_e32 v1, vcc_lo, v1, v3, vcc_lo
	v_lshlrev_b64_e32 v[2:3], 2, v[6:7]
	s_delay_alu instid0(VALU_DEP_3) | instskip(SKIP_1) | instid1(VALU_DEP_3)
	v_add_co_u32 v6, vcc_lo, v0, v12
	s_wait_alu 0xfffd
	v_add_co_ci_u32_e32 v7, vcc_lo, v1, v13, vcc_lo
	v_add_co_u32 v4, vcc_lo, v0, v4
	v_add_nc_u32_e32 v31, 0x400, v30
	s_wait_alu 0xfffd
	v_add_co_ci_u32_e32 v5, vcc_lo, v1, v5, vcc_lo
	ds_load_2addr_b32 v[12:13], v30 offset0:112 offset1:168
	v_add_co_u32 v2, vcc_lo, v0, v2
	v_lshlrev_b64_e32 v[16:17], 2, v[16:17]
	ds_load_2addr_b32 v[18:19], v18 offset0:96 offset1:152
	v_dual_mov_b32 v23, v15 :: v_dual_add_nc_u32 v22, 0x150, v14
	s_wait_alu 0xfffd
	v_add_co_ci_u32_e32 v3, vcc_lo, v1, v3, vcc_lo
	v_add_co_u32 v8, vcc_lo, v0, v8
	v_lshlrev_b64_e32 v[20:21], 2, v[20:21]
	ds_load_2addr_b32 v[24:25], v31 offset0:80 offset1:136
	v_dual_mov_b32 v27, v15 :: v_dual_add_nc_u32 v26, 0x188, v14
	s_wait_alu 0xfffd
	v_add_co_ci_u32_e32 v9, vcc_lo, v1, v9, vcc_lo
	v_add_co_u32 v16, vcc_lo, v0, v16
	v_lshlrev_b64_e32 v[22:23], 2, v[22:23]
	s_wait_alu 0xfffd
	v_add_co_ci_u32_e32 v17, vcc_lo, v1, v17, vcc_lo
	v_add_co_u32 v20, vcc_lo, v0, v20
	v_lshlrev_b64_e32 v[26:27], 2, v[26:27]
	s_wait_alu 0xfffd
	v_add_co_ci_u32_e32 v21, vcc_lo, v1, v21, vcc_lo
	v_add_co_u32 v22, vcc_lo, v0, v22
	s_wait_alu 0xfffd
	v_add_co_ci_u32_e32 v23, vcc_lo, v1, v23, vcc_lo
	v_dual_mov_b32 v29, v15 :: v_dual_add_nc_u32 v28, 0x1c0, v14
	v_add_co_u32 v26, vcc_lo, v0, v26
	s_wait_alu 0xfffd
	v_add_co_ci_u32_e32 v27, vcc_lo, v1, v27, vcc_lo
	s_wait_dscnt 0x3
	s_clause 0x1
	global_store_b32 v[6:7], v10, off
	global_store_b32 v[4:5], v11, off
	s_wait_dscnt 0x2
	s_clause 0x1
	global_store_b32 v[2:3], v12, off
	global_store_b32 v[8:9], v13, off
	;; [unrolled: 4-line block ×4, first 2 shown]
	v_dual_mov_b32 v7, v15 :: v_dual_add_nc_u32 v6, 0x1f8, v14
	v_lshlrev_b64_e32 v[4:5], 2, v[28:29]
	v_dual_mov_b32 v9, v15 :: v_dual_add_nc_u32 v8, 0x230, v14
	v_dual_mov_b32 v11, v15 :: v_dual_add_nc_u32 v18, 0x800, v30
	s_delay_alu instid0(VALU_DEP_4)
	v_lshlrev_b64_e32 v[6:7], 2, v[6:7]
	v_dual_mov_b32 v17, v15 :: v_dual_add_nc_u32 v10, 0x268, v14
	v_add_co_u32 v4, vcc_lo, v0, v4
	v_lshlrev_b64_e32 v[8:9], 2, v[8:9]
	v_dual_mov_b32 v21, v15 :: v_dual_add_nc_u32 v16, 0x2a0, v14
	s_wait_alu 0xfffd
	v_add_co_ci_u32_e32 v5, vcc_lo, v1, v5, vcc_lo
	ds_load_2addr_b32 v[2:3], v31 offset0:192 offset1:248
	v_add_co_u32 v6, vcc_lo, v0, v6
	v_lshlrev_b64_e32 v[10:11], 2, v[10:11]
	v_dual_mov_b32 v23, v15 :: v_dual_add_nc_u32 v20, 0x2d8, v14
	v_add_nc_u32_e32 v31, 0xc00, v30
	s_wait_alu 0xfffd
	v_add_co_ci_u32_e32 v7, vcc_lo, v1, v7, vcc_lo
	ds_load_2addr_b32 v[12:13], v18 offset0:48 offset1:104
	v_add_co_u32 v8, vcc_lo, v0, v8
	v_lshlrev_b64_e32 v[16:17], 2, v[16:17]
	ds_load_2addr_b32 v[18:19], v18 offset0:160 offset1:216
	v_dual_mov_b32 v27, v15 :: v_dual_add_nc_u32 v22, 0x310, v14
	s_wait_alu 0xfffd
	v_add_co_ci_u32_e32 v9, vcc_lo, v1, v9, vcc_lo
	v_add_co_u32 v10, vcc_lo, v0, v10
	v_lshlrev_b64_e32 v[20:21], 2, v[20:21]
	ds_load_2addr_b32 v[24:25], v31 offset0:16 offset1:72
	v_add_nc_u32_e32 v26, 0x348, v14
	s_wait_alu 0xfffd
	v_add_co_ci_u32_e32 v11, vcc_lo, v1, v11, vcc_lo
	v_add_co_u32 v16, vcc_lo, v0, v16
	v_lshlrev_b64_e32 v[22:23], 2, v[22:23]
	s_wait_alu 0xfffd
	v_add_co_ci_u32_e32 v17, vcc_lo, v1, v17, vcc_lo
	v_add_co_u32 v20, vcc_lo, v0, v20
	v_lshlrev_b64_e32 v[26:27], 2, v[26:27]
	s_wait_alu 0xfffd
	v_add_co_ci_u32_e32 v21, vcc_lo, v1, v21, vcc_lo
	v_add_co_u32 v22, vcc_lo, v0, v22
	s_wait_alu 0xfffd
	v_add_co_ci_u32_e32 v23, vcc_lo, v1, v23, vcc_lo
	v_add_nc_u32_e32 v28, 0x380, v14
	v_add_co_u32 v26, vcc_lo, v0, v26
	s_wait_alu 0xfffd
	v_add_co_ci_u32_e32 v27, vcc_lo, v1, v27, vcc_lo
	s_wait_dscnt 0x3
	s_clause 0x1
	global_store_b32 v[4:5], v2, off
	global_store_b32 v[6:7], v3, off
	s_wait_dscnt 0x2
	s_clause 0x1
	global_store_b32 v[8:9], v12, off
	global_store_b32 v[10:11], v13, off
	;; [unrolled: 4-line block ×4, first 2 shown]
	v_dual_mov_b32 v9, v15 :: v_dual_add_nc_u32 v4, 0x3b8, v14
	v_mov_b32_e32 v11, v15
	v_mov_b32_e32 v5, v15
	v_lshlrev_b64_e32 v[28:29], 2, v[28:29]
	v_dual_mov_b32 v17, v15 :: v_dual_add_nc_u32 v8, 0x3f0, v14
	v_add_nc_u32_e32 v12, 0xe00, v30
	s_delay_alu instid0(VALU_DEP_4)
	v_lshlrev_b64_e32 v[4:5], 2, v[4:5]
	v_add_nc_u32_e32 v10, 0x428, v14
	ds_load_2addr_b32 v[2:3], v31 offset0:128 offset1:184
	v_add_co_u32 v6, vcc_lo, v0, v28
	v_lshlrev_b64_e32 v[8:9], 2, v[8:9]
	v_add_nc_u32_e32 v16, 0x460, v14
	s_wait_alu 0xfffd
	v_add_co_ci_u32_e32 v7, vcc_lo, v1, v29, vcc_lo
	ds_load_2addr_b32 v[12:13], v12 offset0:112 offset1:168
	v_add_co_u32 v4, vcc_lo, v0, v4
	v_lshlrev_b64_e32 v[10:11], 2, v[10:11]
	ds_load_b32 v18, v30 offset:4480
	s_wait_alu 0xfffd
	v_add_co_ci_u32_e32 v5, vcc_lo, v1, v5, vcc_lo
	v_add_co_u32 v8, vcc_lo, v0, v8
	v_lshlrev_b64_e32 v[16:17], 2, v[16:17]
	s_wait_alu 0xfffd
	v_add_co_ci_u32_e32 v9, vcc_lo, v1, v9, vcc_lo
	v_add_co_u32 v10, vcc_lo, v0, v10
	s_wait_alu 0xfffd
	v_add_co_ci_u32_e32 v11, vcc_lo, v1, v11, vcc_lo
	v_add_co_u32 v16, vcc_lo, v0, v16
	s_wait_alu 0xfffd
	v_add_co_ci_u32_e32 v17, vcc_lo, v1, v17, vcc_lo
	v_cmp_eq_u32_e32 vcc_lo, 55, v14
	s_wait_dscnt 0x2
	s_clause 0x1
	global_store_b32 v[6:7], v2, off
	global_store_b32 v[4:5], v3, off
	s_wait_dscnt 0x1
	s_clause 0x1
	global_store_b32 v[8:9], v12, off
	global_store_b32 v[10:11], v13, off
	s_wait_dscnt 0x0
	global_store_b32 v[16:17], v18, off
	s_and_b32 exec_lo, exec_lo, vcc_lo
	s_cbranch_execz .LBB0_32
; %bb.31:
	ds_load_b32 v2, v15 offset:4704
	s_wait_dscnt 0x0
	global_store_b32 v[0:1], v2, off offset:4704
.LBB0_32:
	s_nop 0
	s_sendmsg sendmsg(MSG_DEALLOC_VGPRS)
	s_endpgm
	.section	.rodata,"a",@progbits
	.p2align	6, 0x0
	.amdhsa_kernel fft_rtc_fwd_len1176_factors_2_2_2_3_7_7_wgs_56_tpt_56_halfLds_half_op_CI_CI_unitstride_sbrr_R2C_dirReg
		.amdhsa_group_segment_fixed_size 0
		.amdhsa_private_segment_fixed_size 0
		.amdhsa_kernarg_size 104
		.amdhsa_user_sgpr_count 2
		.amdhsa_user_sgpr_dispatch_ptr 0
		.amdhsa_user_sgpr_queue_ptr 0
		.amdhsa_user_sgpr_kernarg_segment_ptr 1
		.amdhsa_user_sgpr_dispatch_id 0
		.amdhsa_user_sgpr_private_segment_size 0
		.amdhsa_wavefront_size32 1
		.amdhsa_uses_dynamic_stack 0
		.amdhsa_enable_private_segment 0
		.amdhsa_system_sgpr_workgroup_id_x 1
		.amdhsa_system_sgpr_workgroup_id_y 0
		.amdhsa_system_sgpr_workgroup_id_z 0
		.amdhsa_system_sgpr_workgroup_info 0
		.amdhsa_system_vgpr_workitem_id 0
		.amdhsa_next_free_vgpr 119
		.amdhsa_next_free_sgpr 39
		.amdhsa_reserve_vcc 1
		.amdhsa_float_round_mode_32 0
		.amdhsa_float_round_mode_16_64 0
		.amdhsa_float_denorm_mode_32 3
		.amdhsa_float_denorm_mode_16_64 3
		.amdhsa_fp16_overflow 0
		.amdhsa_workgroup_processor_mode 1
		.amdhsa_memory_ordered 1
		.amdhsa_forward_progress 0
		.amdhsa_round_robin_scheduling 0
		.amdhsa_exception_fp_ieee_invalid_op 0
		.amdhsa_exception_fp_denorm_src 0
		.amdhsa_exception_fp_ieee_div_zero 0
		.amdhsa_exception_fp_ieee_overflow 0
		.amdhsa_exception_fp_ieee_underflow 0
		.amdhsa_exception_fp_ieee_inexact 0
		.amdhsa_exception_int_div_zero 0
	.end_amdhsa_kernel
	.text
.Lfunc_end0:
	.size	fft_rtc_fwd_len1176_factors_2_2_2_3_7_7_wgs_56_tpt_56_halfLds_half_op_CI_CI_unitstride_sbrr_R2C_dirReg, .Lfunc_end0-fft_rtc_fwd_len1176_factors_2_2_2_3_7_7_wgs_56_tpt_56_halfLds_half_op_CI_CI_unitstride_sbrr_R2C_dirReg
                                        ; -- End function
	.section	.AMDGPU.csdata,"",@progbits
; Kernel info:
; codeLenInByte = 16268
; NumSgprs: 41
; NumVgprs: 119
; ScratchSize: 0
; MemoryBound: 0
; FloatMode: 240
; IeeeMode: 1
; LDSByteSize: 0 bytes/workgroup (compile time only)
; SGPRBlocks: 5
; VGPRBlocks: 14
; NumSGPRsForWavesPerEU: 41
; NumVGPRsForWavesPerEU: 119
; Occupancy: 12
; WaveLimiterHint : 1
; COMPUTE_PGM_RSRC2:SCRATCH_EN: 0
; COMPUTE_PGM_RSRC2:USER_SGPR: 2
; COMPUTE_PGM_RSRC2:TRAP_HANDLER: 0
; COMPUTE_PGM_RSRC2:TGID_X_EN: 1
; COMPUTE_PGM_RSRC2:TGID_Y_EN: 0
; COMPUTE_PGM_RSRC2:TGID_Z_EN: 0
; COMPUTE_PGM_RSRC2:TIDIG_COMP_CNT: 0
	.text
	.p2alignl 7, 3214868480
	.fill 96, 4, 3214868480
	.type	__hip_cuid_ac240d600c127511,@object ; @__hip_cuid_ac240d600c127511
	.section	.bss,"aw",@nobits
	.globl	__hip_cuid_ac240d600c127511
__hip_cuid_ac240d600c127511:
	.byte	0                               ; 0x0
	.size	__hip_cuid_ac240d600c127511, 1

	.ident	"AMD clang version 19.0.0git (https://github.com/RadeonOpenCompute/llvm-project roc-6.4.0 25133 c7fe45cf4b819c5991fe208aaa96edf142730f1d)"
	.section	".note.GNU-stack","",@progbits
	.addrsig
	.addrsig_sym __hip_cuid_ac240d600c127511
	.amdgpu_metadata
---
amdhsa.kernels:
  - .args:
      - .actual_access:  read_only
        .address_space:  global
        .offset:         0
        .size:           8
        .value_kind:     global_buffer
      - .offset:         8
        .size:           8
        .value_kind:     by_value
      - .actual_access:  read_only
        .address_space:  global
        .offset:         16
        .size:           8
        .value_kind:     global_buffer
      - .actual_access:  read_only
        .address_space:  global
        .offset:         24
        .size:           8
        .value_kind:     global_buffer
      - .actual_access:  read_only
        .address_space:  global
        .offset:         32
        .size:           8
        .value_kind:     global_buffer
      - .offset:         40
        .size:           8
        .value_kind:     by_value
      - .actual_access:  read_only
        .address_space:  global
        .offset:         48
        .size:           8
        .value_kind:     global_buffer
      - .actual_access:  read_only
        .address_space:  global
        .offset:         56
        .size:           8
        .value_kind:     global_buffer
      - .offset:         64
        .size:           4
        .value_kind:     by_value
      - .actual_access:  read_only
        .address_space:  global
        .offset:         72
        .size:           8
        .value_kind:     global_buffer
      - .actual_access:  read_only
        .address_space:  global
        .offset:         80
        .size:           8
        .value_kind:     global_buffer
      - .actual_access:  read_only
        .address_space:  global
        .offset:         88
        .size:           8
        .value_kind:     global_buffer
      - .actual_access:  write_only
        .address_space:  global
        .offset:         96
        .size:           8
        .value_kind:     global_buffer
    .group_segment_fixed_size: 0
    .kernarg_segment_align: 8
    .kernarg_segment_size: 104
    .language:       OpenCL C
    .language_version:
      - 2
      - 0
    .max_flat_workgroup_size: 56
    .name:           fft_rtc_fwd_len1176_factors_2_2_2_3_7_7_wgs_56_tpt_56_halfLds_half_op_CI_CI_unitstride_sbrr_R2C_dirReg
    .private_segment_fixed_size: 0
    .sgpr_count:     41
    .sgpr_spill_count: 0
    .symbol:         fft_rtc_fwd_len1176_factors_2_2_2_3_7_7_wgs_56_tpt_56_halfLds_half_op_CI_CI_unitstride_sbrr_R2C_dirReg.kd
    .uniform_work_group_size: 1
    .uses_dynamic_stack: false
    .vgpr_count:     119
    .vgpr_spill_count: 0
    .wavefront_size: 32
    .workgroup_processor_mode: 1
amdhsa.target:   amdgcn-amd-amdhsa--gfx1201
amdhsa.version:
  - 1
  - 2
...

	.end_amdgpu_metadata
